;; amdgpu-corpus repo=ROCm/rocFFT kind=compiled arch=gfx1100 opt=O3
	.text
	.amdgcn_target "amdgcn-amd-amdhsa--gfx1100"
	.amdhsa_code_object_version 6
	.protected	bluestein_single_fwd_len1088_dim1_dp_op_CI_CI ; -- Begin function bluestein_single_fwd_len1088_dim1_dp_op_CI_CI
	.globl	bluestein_single_fwd_len1088_dim1_dp_op_CI_CI
	.p2align	8
	.type	bluestein_single_fwd_len1088_dim1_dp_op_CI_CI,@function
bluestein_single_fwd_len1088_dim1_dp_op_CI_CI: ; @bluestein_single_fwd_len1088_dim1_dp_op_CI_CI
; %bb.0:
	s_load_b128 s[8:11], s[0:1], 0x28
	v_mul_u32_u24_e32 v1, 0x3c4, v0
	s_mov_b32 s2, exec_lo
	s_delay_alu instid0(VALU_DEP_1) | instskip(NEXT) | instid1(VALU_DEP_1)
	v_lshrrev_b32_e32 v1, 16, v1
	v_mad_u64_u32 v[248:249], null, s15, 3, v[1:2]
	v_mov_b32_e32 v249, 0
                                        ; kill: def $vgpr2 killed $sgpr0 killed $exec
	s_waitcnt lgkmcnt(0)
	s_delay_alu instid0(VALU_DEP_1)
	v_cmpx_gt_u64_e64 s[8:9], v[248:249]
	s_cbranch_execz .LBB0_15
; %bb.1:
	v_mul_lo_u16 v1, 0x44, v1
	v_mul_hi_u32 v2, 0xaaaaaaab, v248
	s_clause 0x1
	s_load_b64 s[8:9], s[0:1], 0x0
	s_load_b64 s[12:13], s[0:1], 0x38
	v_sub_nc_u16 v0, v0, v1
	s_delay_alu instid0(VALU_DEP_2) | instskip(NEXT) | instid1(VALU_DEP_2)
	v_lshrrev_b32_e32 v1, 1, v2
	v_and_b32_e32 v246, 0xffff, v0
	v_cmp_gt_u16_e32 vcc_lo, 64, v0
	s_delay_alu instid0(VALU_DEP_3) | instskip(NEXT) | instid1(VALU_DEP_3)
	v_lshl_add_u32 v1, v1, 1, v1
	v_lshlrev_b32_e32 v0, 4, v246
	v_or_b32_e32 v255, 0x140, v246
	v_or_b32_e32 v254, 0x180, v246
	;; [unrolled: 1-line block ×4, first 2 shown]
	scratch_store_b32 off, v0, off offset:464 ; 4-byte Folded Spill
	v_sub_nc_u32_e32 v0, v248, v1
	v_or_b32_e32 v1, 64, v246
	v_or_b32_e32 v224, 0x280, v246
	;; [unrolled: 1-line block ×3, first 2 shown]
	s_delay_alu instid0(VALU_DEP_4)
	v_mul_u32_u24_e32 v0, 0x440, v0
	scratch_store_b32 off, v1, off offset:472 ; 4-byte Folded Spill
	v_or_b32_e32 v1, 0x80, v246
	scratch_store_b32 off, v0, off          ; 4-byte Folded Spill
	v_or_b32_e32 v0, v0, v246
	scratch_store_b32 off, v1, off offset:468 ; 4-byte Folded Spill
	v_or_b32_e32 v1, 0xc0, v246
	v_lshlrev_b32_e32 v0, 4, v0
	scratch_store_b32 off, v1, off offset:460 ; 4-byte Folded Spill
	v_or_b32_e32 v1, 0x100, v246
	scratch_store_b32 off, v0, off offset:4 ; 4-byte Folded Spill
	v_or_b32_e32 v0, 0x340, v246
	;; [unrolled: 2-line block ×3, first 2 shown]
	s_clause 0x1
	scratch_store_b32 off, v0, off offset:480
	scratch_store_b32 off, v1, off offset:484
	v_or_b32_e32 v1, 0x300, v246
	scratch_store_b32 off, v1, off offset:476 ; 4-byte Folded Spill
	s_and_saveexec_b32 s3, vcc_lo
	s_cbranch_execz .LBB0_3
; %bb.2:
	s_load_b64 s[4:5], s[0:1], 0x18
	v_or_b32_e32 v29, 64, v246
	v_or_b32_e32 v30, 0x80, v246
	;; [unrolled: 1-line block ×10, first 2 shown]
	v_lshlrev_b32_e32 v96, 4, v225
	v_lshlrev_b32_e32 v116, 4, v115
	;; [unrolled: 1-line block ×5, first 2 shown]
	s_waitcnt lgkmcnt(0)
	s_load_b128 s[4:7], s[4:5], 0x0
	s_waitcnt lgkmcnt(0)
	v_mad_u64_u32 v[12:13], null, s6, v248, 0
	v_mad_u64_u32 v[14:15], null, s4, v246, 0
	;; [unrolled: 1-line block ×5, first 2 shown]
	s_delay_alu instid0(VALU_DEP_4)
	v_mad_u64_u32 v[25:26], null, s7, v248, v[13:14]
	v_mad_u64_u32 v[20:21], null, s4, v31, 0
	v_mad_u64_u32 v[22:23], null, s4, v34, 0
	v_mad_u64_u32 v[26:27], null, s5, v246, v[15:16]
	v_mad_u64_u32 v[27:28], null, s5, v29, v[17:18]
	v_dual_mov_b32 v13, v25 :: v_dual_lshlrev_b32 v170, 4, v246
	v_mov_b32_e32 v24, v33
	v_mad_u64_u32 v[42:43], null, s4, v254, 0
	v_mad_u64_u32 v[28:29], null, s5, v30, v[19:20]
	v_dual_mov_b32 v17, v27 :: v_dual_lshlrev_b32 v36, 4, v34
	v_mov_b32_e32 v15, v26
	v_mad_u64_u32 v[29:30], null, s5, v31, v[21:22]
	v_lshlrev_b64 v[12:13], 4, v[12:13]
	v_mad_u64_u32 v[30:31], null, s5, v34, v[23:24]
	v_mad_u64_u32 v[54:55], null, s4, v253, 0
	v_lshlrev_b64 v[14:15], 4, v[14:15]
	v_mad_u64_u32 v[33:34], null, s5, v255, v[24:25]
	v_dual_mov_b32 v24, v43 :: v_dual_mov_b32 v19, v28
	v_add_co_u32 v40, s2, s10, v12
	v_lshlrev_b64 v[16:17], 4, v[16:17]
	v_add_co_ci_u32_e64 v41, s2, s11, v13, s2
	v_mad_u64_u32 v[70:71], null, s4, v81, 0
	v_dual_mov_b32 v21, v29 :: v_dual_mov_b32 v46, v55
	v_mov_b32_e32 v23, v30
	v_mad_u64_u32 v[62:63], null, s4, v252, 0
	v_lshlrev_b64 v[18:19], 4, v[18:19]
	v_add_co_u32 v14, s2, v40, v14
	v_mad_u64_u32 v[106:107], null, s4, v115, 0
	v_add_co_ci_u32_e64 v15, s2, v41, v15, s2
	v_mad_u64_u32 v[47:48], null, s5, v253, v[46:47]
	v_lshlrev_b32_e32 v46, 4, v255
	v_lshlrev_b64 v[12:13], 4, v[22:23]
	v_add_co_u32 v22, s2, v40, v16
	s_delay_alu instid0(VALU_DEP_1)
	v_add_co_ci_u32_e64 v23, s2, v41, v17, s2
	v_mov_b32_e32 v64, v71
	v_add_co_u32 v25, s2, v40, v18
	v_mov_b32_e32 v56, v63
	v_mov_b32_e32 v100, v107
	v_mad_u64_u32 v[108:109], null, s4, v122, 0
	v_lshlrev_b64 v[20:21], 4, v[20:21]
	v_mad_u64_u32 v[74:75], null, s4, v224, 0
	v_mad_u64_u32 v[65:66], null, s5, v81, v[64:65]
	;; [unrolled: 1-line block ×5, first 2 shown]
	v_add_co_ci_u32_e64 v26, s2, v41, v19, s2
	v_add_co_u32 v20, s2, v40, v20
	v_lshlrev_b64 v[44:45], 4, v[32:33]
	v_mad_u64_u32 v[82:83], null, s4, v225, 0
	v_dual_mov_b32 v100, v109 :: v_dual_mov_b32 v55, v47
	v_lshlrev_b32_e32 v56, 4, v254
	v_add_co_ci_u32_e64 v21, s2, v41, v21, s2
	v_dual_mov_b32 v64, v75 :: v_dual_mov_b32 v71, v65
	v_add_co_u32 v34, s2, v40, v12
	v_lshlrev_b64 v[42:43], 4, v[42:43]
	v_mov_b32_e32 v63, v57
	v_add_co_ci_u32_e64 v35, s2, v41, v13, s2
	v_mad_u64_u32 v[112:113], null, s5, v122, v[100:101]
	v_add_co_u32 v44, s2, v40, v44
	v_lshlrev_b64 v[54:55], 4, v[54:55]
	v_mad_u64_u32 v[75:76], null, s5, v224, v[64:65]
	v_lshlrev_b64 v[77:78], 4, v[70:71]
	v_add_co_ci_u32_e64 v45, s2, v41, v45, s2
	v_dual_mov_b32 v76, v83 :: v_dual_mov_b32 v109, v112
	v_add_co_u32 v50, s2, v40, v42
	v_lshlrev_b64 v[62:63], 4, v[62:63]
	v_add_co_ci_u32_e64 v51, s2, v41, v43, s2
	v_add_co_u32 v58, s2, v40, v54
	v_mad_u64_u32 v[79:80], null, s5, v225, v[76:77]
	v_add_co_ci_u32_e64 v59, s2, v41, v55, s2
	v_add_co_u32 v66, s2, v40, v62
	v_lshlrev_b32_e32 v68, 4, v253
	v_dual_mov_b32 v107, v101 :: v_dual_lshlrev_b32 v72, 4, v252
	v_add_co_ci_u32_e64 v67, s2, v41, v63, s2
	s_clause 0x2
	global_load_b128 v[0:3], v170, s[8:9]
	global_load_b128 v[4:7], v170, s[8:9] offset:1024
	global_load_b128 v[8:11], v170, s[8:9] offset:2048
	s_clause 0x3
	global_load_b128 v[16:19], v[14:15], off
	global_load_b128 v[12:15], v[22:23], off
	;; [unrolled: 1-line block ×4, first 2 shown]
	global_load_b128 v[28:31], v170, s[8:9] offset:3072
	global_load_b128 v[32:35], v[34:35], off
	global_load_b128 v[36:39], v36, s[8:9]
	global_load_b128 v[42:45], v[44:45], off
	global_load_b128 v[46:49], v46, s[8:9]
	;; [unrolled: 2-line block ×3, first 2 shown]
	global_load_b128 v[58:61], v[58:59], off
	v_mov_b32_e32 v83, v79
	global_load_b128 v[62:65], v68, s[8:9]
	global_load_b128 v[66:69], v[66:67], off
	global_load_b128 v[70:73], v72, s[8:9]
	v_mad_u64_u32 v[110:111], null, s4, v124, 0
	v_mad_u64_u32 v[94:95], null, s4, v103, 0
	;; [unrolled: 1-line block ×3, first 2 shown]
	v_add_co_u32 v76, s2, v40, v77
	s_delay_alu instid0(VALU_DEP_4)
	v_mad_u64_u32 v[112:113], null, s5, v124, v[111:112]
	v_lshlrev_b64 v[87:88], 4, v[82:83]
	v_add_co_ci_u32_e64 v77, s2, v41, v78, s2
	v_dual_mov_b32 v111, v119 :: v_dual_lshlrev_b32 v78, 4, v81
	v_mov_b32_e32 v86, v95
	v_lshlrev_b64 v[74:75], 4, v[74:75]
	v_lshlrev_b64 v[106:107], 4, v[106:107]
	;; [unrolled: 1-line block ×3, first 2 shown]
	v_mad_u64_u32 v[113:114], null, s5, v125, v[111:112]
	v_mov_b32_e32 v111, v112
	v_mad_u64_u32 v[89:90], null, s5, v103, v[86:87]
	v_add_co_u32 v84, s2, v40, v74
	s_delay_alu instid0(VALU_DEP_1) | instskip(SKIP_1) | instid1(VALU_DEP_4)
	v_add_co_ci_u32_e64 v85, s2, v41, v75, s2
	v_add_co_u32 v90, s2, v40, v87
	v_mov_b32_e32 v95, v89
	v_add_co_ci_u32_e64 v91, s2, v41, v88, s2
	v_dual_mov_b32 v119, v113 :: v_dual_lshlrev_b32 v86, 4, v224
	s_delay_alu instid0(VALU_DEP_3)
	v_lshlrev_b64 v[98:99], 4, v[94:95]
	v_lshlrev_b64 v[120:121], 4, v[110:111]
	v_lshlrev_b32_e32 v102, 4, v103
	s_clause 0x1
	global_load_b128 v[74:77], v[76:77], off
	global_load_b128 v[82:85], v[84:85], off
	v_lshlrev_b64 v[118:119], 4, v[118:119]
	v_add_co_u32 v98, s2, v40, v98
	s_delay_alu instid0(VALU_DEP_1) | instskip(SKIP_1) | instid1(VALU_DEP_1)
	v_add_co_ci_u32_e64 v99, s2, v41, v99, s2
	v_add_co_u32 v106, s2, v40, v106
	v_add_co_ci_u32_e64 v107, s2, v41, v107, s2
	v_add_co_u32 v114, s2, v40, v108
	global_load_b128 v[78:81], v78, s[8:9]
	v_add_co_ci_u32_e64 v115, s2, v41, v109, s2
	v_add_co_u32 v122, s2, v40, v120
	global_load_b128 v[86:89], v86, s[8:9]
	global_load_b128 v[90:93], v[90:91], off
	global_load_b128 v[94:97], v96, s[8:9]
	global_load_b128 v[98:101], v[98:99], off
	global_load_b128 v[102:105], v102, s[8:9]
	v_add_co_ci_u32_e64 v123, s2, v41, v121, s2
	global_load_b128 v[106:109], v[106:107], off
	v_add_co_u32 v40, s2, v40, v118
	global_load_b128 v[110:113], v116, s[8:9]
	global_load_b128 v[114:117], v[114:115], off
	v_add_co_ci_u32_e64 v41, s2, v41, v119, s2
	global_load_b128 v[118:121], v126, s[8:9]
	global_load_b128 v[122:125], v[122:123], off
	s_clause 0x1
	global_load_b128 v[126:129], v127, s[8:9]
	global_load_b128 v[130:133], v130, s[8:9]
	global_load_b128 v[134:137], v[40:41], off
	s_waitcnt vmcnt(30)
	v_mul_f64 v[40:41], v[18:19], v[2:3]
	v_mul_f64 v[2:3], v[16:17], v[2:3]
	s_waitcnt vmcnt(29)
	v_mul_f64 v[138:139], v[14:15], v[6:7]
	v_mul_f64 v[6:7], v[12:13], v[6:7]
	;; [unrolled: 3-line block ×3, first 2 shown]
	v_mul_f64 v[140:141], v[26:27], v[10:11]
	v_mul_f64 v[10:11], v[24:25], v[10:11]
	;; [unrolled: 1-line block ×4, first 2 shown]
	s_waitcnt vmcnt(16)
	v_mul_f64 v[152:153], v[68:69], v[72:73]
	v_mul_f64 v[72:73], v[66:67], v[72:73]
	;; [unrolled: 1-line block ×8, first 2 shown]
	v_fma_f64 v[16:17], v[16:17], v[0:1], v[40:41]
	v_fma_f64 v[18:19], v[18:19], v[0:1], -v[2:3]
	v_fma_f64 v[0:1], v[12:13], v[4:5], v[138:139]
	v_fma_f64 v[2:3], v[14:15], v[4:5], -v[6:7]
	;; [unrolled: 2-line block ×6, first 2 shown]
	s_clause 0x1
	scratch_load_b32 v68, off, off
	scratch_load_b32 v69, off, off offset:4
	v_fma_f64 v[20:21], v[42:43], v[46:47], v[146:147]
	v_fma_f64 v[22:23], v[44:45], v[46:47], -v[48:49]
	v_fma_f64 v[24:25], v[50:51], v[54:55], v[148:149]
	v_fma_f64 v[26:27], v[52:53], v[54:55], -v[56:57]
	;; [unrolled: 2-line block ×3, first 2 shown]
	s_waitcnt vmcnt(15)
	v_mul_f64 v[154:155], v[76:77], v[80:81]
	v_mul_f64 v[80:81], v[74:75], v[80:81]
	s_waitcnt vmcnt(14)
	v_mul_f64 v[156:157], v[84:85], v[88:89]
	v_mul_f64 v[88:89], v[82:83], v[88:89]
	;; [unrolled: 3-line block ×8, first 2 shown]
	v_fma_f64 v[36:37], v[74:75], v[78:79], v[154:155]
	v_fma_f64 v[38:39], v[76:77], v[78:79], -v[80:81]
	v_fma_f64 v[40:41], v[82:83], v[86:87], v[156:157]
	v_fma_f64 v[42:43], v[84:85], v[86:87], -v[88:89]
	v_fma_f64 v[44:45], v[90:91], v[94:95], v[158:159]
	v_fma_f64 v[46:47], v[92:93], v[94:95], -v[96:97]
	v_fma_f64 v[48:49], v[98:99], v[102:103], v[160:161]
	v_fma_f64 v[50:51], v[100:101], v[102:103], -v[104:105]
	v_fma_f64 v[52:53], v[106:107], v[110:111], v[162:163]
	v_fma_f64 v[54:55], v[108:109], v[110:111], -v[112:113]
	v_fma_f64 v[56:57], v[114:115], v[118:119], v[164:165]
	v_fma_f64 v[58:59], v[116:117], v[118:119], -v[120:121]
	v_fma_f64 v[60:61], v[122:123], v[126:127], v[166:167]
	v_fma_f64 v[62:63], v[124:125], v[126:127], -v[128:129]
	v_fma_f64 v[64:65], v[134:135], v[130:131], v[168:169]
	v_fma_f64 v[66:67], v[136:137], v[130:131], -v[132:133]
	s_waitcnt vmcnt(1)
	v_lshl_add_u32 v68, v68, 4, v170
	s_waitcnt vmcnt(0)
	ds_store_b128 v69, v[16:19]
	ds_store_b128 v68, v[0:3] offset:1024
	ds_store_b128 v68, v[4:7] offset:2048
	;; [unrolled: 1-line block ×16, first 2 shown]
.LBB0_3:
	s_or_b32 exec_lo, exec_lo, s3
	s_clause 0x1
	s_load_b64 s[4:5], s[0:1], 0x20
	s_load_b64 s[2:3], s[0:1], 0x8
	scratch_load_b32 v0, off, off           ; 4-byte Folded Reload
                                        ; implicit-def: $vgpr4_vgpr5
                                        ; implicit-def: $vgpr60_vgpr61
                                        ; implicit-def: $vgpr56_vgpr57
                                        ; implicit-def: $vgpr44_vgpr45
                                        ; implicit-def: $vgpr40_vgpr41
                                        ; implicit-def: $vgpr28_vgpr29
                                        ; implicit-def: $vgpr24_vgpr25
                                        ; implicit-def: $vgpr12_vgpr13
                                        ; implicit-def: $vgpr8_vgpr9
                                        ; implicit-def: $vgpr16_vgpr17
                                        ; implicit-def: $vgpr20_vgpr21
                                        ; implicit-def: $vgpr32_vgpr33
                                        ; implicit-def: $vgpr36_vgpr37
                                        ; implicit-def: $vgpr48_vgpr49
                                        ; implicit-def: $vgpr52_vgpr53
                                        ; implicit-def: $vgpr64_vgpr65
                                        ; implicit-def: $vgpr68_vgpr69
	s_waitcnt vmcnt(0)
	v_lshlrev_b32_e32 v0, 4, v0
	scratch_store_b32 off, v0, off offset:488 ; 4-byte Folded Spill
	s_waitcnt lgkmcnt(0)
	s_waitcnt_vscnt null, 0x0
	s_barrier
	buffer_gl0_inv
	s_and_saveexec_b32 s0, vcc_lo
	s_cbranch_execz .LBB0_5
; %bb.4:
	s_clause 0x1
	scratch_load_b32 v0, off, off
	scratch_load_b32 v1, off, off offset:4
	s_waitcnt vmcnt(1)
	v_lshlrev_b32_e32 v0, 4, v0
	s_delay_alu instid0(VALU_DEP_1)
	v_lshl_add_u32 v0, v246, 4, v0
	s_waitcnt vmcnt(0)
	ds_load_b128 v[4:7], v1
	ds_load_b128 v[68:71], v0 offset:1024
	ds_load_b128 v[64:67], v0 offset:2048
	;; [unrolled: 1-line block ×16, first 2 shown]
.LBB0_5:
	s_or_b32 exec_lo, exec_lo, s0
	s_waitcnt lgkmcnt(0)
	v_add_f64 v[158:159], v[70:71], -v[10:11]
	v_add_f64 v[162:163], v[68:69], -v[8:9]
	s_mov_b32 s0, 0x5d8e7cdc
	s_mov_b32 s1, 0xbfd71e95
	v_add_f64 v[152:153], v[8:9], v[68:69]
	v_add_f64 v[164:165], v[10:11], v[70:71]
	v_add_f64 v[98:99], v[66:67], -v[14:15]
	v_add_f64 v[72:73], v[64:65], -v[12:13]
	s_mov_b32 s6, 0x370991
	s_mov_b32 s14, 0x2a9d6da3
	s_mov_b32 s7, 0x3fedd6d0
	s_mov_b32 s15, 0xbfe58eea
	v_add_f64 v[74:75], v[12:13], v[64:65]
	v_add_f64 v[102:103], v[14:15], v[66:67]
	v_add_f64 v[104:105], v[62:63], -v[18:19]
	v_add_f64 v[76:77], v[60:61], -v[16:17]
	s_mov_b32 s18, 0x75d4884
	s_mov_b32 s10, 0x7c9e640b
	;; [unrolled: 8-line block ×4, first 2 shown]
	s_mov_b32 s23, 0x3fb79ee6
	s_mov_b32 s21, 0xbfeec746
	v_add_f64 v[114:115], v[26:27], v[54:55]
	v_add_f64 v[116:117], v[50:51], -v[30:31]
	v_mul_f64 v[160:161], v[158:159], s[0:1]
	v_mul_f64 v[166:167], v[162:163], s[0:1]
	s_mov_b32 s24, 0xc61f0d01
	s_mov_b32 s34, 0x6c9a05f6
	s_mov_b32 s25, 0xbfd183b1
	s_mov_b32 s35, 0xbfe9895b
	v_mul_f64 v[128:129], v[98:99], s[14:15]
	v_mul_f64 v[130:131], v[72:73], s[14:15]
	v_add_f64 v[118:119], v[30:31], v[50:51]
	v_add_f64 v[120:121], v[46:47], -v[34:35]
	s_mov_b32 s30, 0x6ed5f1bb
	s_mov_b32 s28, 0x4363dd80
	;; [unrolled: 1-line block ×4, first 2 shown]
	v_mul_f64 v[132:133], v[104:105], s[10:11]
	v_mul_f64 v[134:135], v[76:77], s[10:11]
	v_add_f64 v[122:123], v[46:47], v[34:35]
	v_add_f64 v[124:125], v[42:43], -v[38:39]
	s_mov_b32 s36, 0x910ea3b9
	s_mov_b32 s40, 0xacd6c6b4
	;; [unrolled: 1-line block ×4, first 2 shown]
	v_mul_f64 v[138:139], v[80:81], s[26:27]
	v_mul_f64 v[136:137], v[108:109], s[26:27]
	s_mov_b32 s38, 0x7faef3
	s_mov_b32 s39, 0xbfef7484
	s_barrier
	buffer_gl0_inv
	v_mul_f64 v[142:143], v[84:85], s[20:21]
	v_mul_f64 v[140:141], v[112:113], s[20:21]
	;; [unrolled: 1-line block ×3, first 2 shown]
	v_fma_f64 v[0:1], v[152:153], s[6:7], v[160:161]
	v_fma_f64 v[2:3], v[164:165], s[6:7], -v[166:167]
	v_fma_f64 v[86:87], v[74:75], s[18:19], v[128:129]
	v_fma_f64 v[88:89], v[102:103], s[18:19], -v[130:131]
	v_mul_f64 v[148:149], v[120:121], s[28:29]
	v_fma_f64 v[90:91], v[78:79], s[16:17], v[132:133]
	v_fma_f64 v[92:93], v[106:107], s[16:17], -v[134:135]
	v_mul_f64 v[154:155], v[124:125], s[40:41]
	v_fma_f64 v[96:97], v[110:111], s[22:23], -v[138:139]
	v_fma_f64 v[94:95], v[82:83], s[22:23], v[136:137]
	v_fma_f64 v[126:127], v[114:115], s[24:25], -v[142:143]
	v_add_f64 v[0:1], v[4:5], v[0:1]
	v_add_f64 v[2:3], v[6:7], v[2:3]
	s_delay_alu instid0(VALU_DEP_2) | instskip(NEXT) | instid1(VALU_DEP_2)
	v_add_f64 v[0:1], v[86:87], v[0:1]
	v_add_f64 v[2:3], v[88:89], v[2:3]
	;; [unrolled: 1-line block ×3, first 2 shown]
	v_add_f64 v[88:89], v[48:49], -v[28:29]
	s_delay_alu instid0(VALU_DEP_4) | instskip(NEXT) | instid1(VALU_DEP_4)
	v_add_f64 v[0:1], v[90:91], v[0:1]
	v_add_f64 v[2:3], v[92:93], v[2:3]
	v_add_f64 v[90:91], v[28:29], v[48:49]
	v_add_f64 v[92:93], v[44:45], -v[32:33]
	v_mul_f64 v[146:147], v[88:89], s[34:35]
	v_fma_f64 v[100:101], v[86:87], s[24:25], v[140:141]
	v_add_f64 v[0:1], v[94:95], v[0:1]
	v_add_f64 v[2:3], v[96:97], v[2:3]
	;; [unrolled: 1-line block ×3, first 2 shown]
	v_add_f64 v[96:97], v[40:41], -v[36:37]
	v_mul_f64 v[150:151], v[92:93], s[28:29]
	v_fma_f64 v[168:169], v[90:91], s[30:31], v[144:145]
	v_fma_f64 v[170:171], v[118:119], s[30:31], -v[146:147]
	v_add_f64 v[0:1], v[100:101], v[0:1]
	v_add_f64 v[2:3], v[126:127], v[2:3]
	;; [unrolled: 1-line block ×4, first 2 shown]
	v_mul_f64 v[156:157], v[96:97], s[40:41]
	v_fma_f64 v[172:173], v[94:95], s[36:37], v[148:149]
	v_fma_f64 v[174:175], v[122:123], s[36:37], -v[150:151]
	v_add_f64 v[0:1], v[168:169], v[0:1]
	v_add_f64 v[2:3], v[170:171], v[2:3]
	v_fma_f64 v[168:169], v[100:101], s[38:39], v[154:155]
	v_fma_f64 v[170:171], v[126:127], s[38:39], -v[156:157]
	s_delay_alu instid0(VALU_DEP_4) | instskip(NEXT) | instid1(VALU_DEP_4)
	v_add_f64 v[0:1], v[172:173], v[0:1]
	v_add_f64 v[2:3], v[174:175], v[2:3]
	s_delay_alu instid0(VALU_DEP_2) | instskip(NEXT) | instid1(VALU_DEP_2)
	v_add_f64 v[208:209], v[168:169], v[0:1]
	v_add_f64 v[210:211], v[170:171], v[2:3]
	s_and_saveexec_b32 s33, vcc_lo
	s_cbranch_execz .LBB0_7
; %bb.6:
	v_add_f64 v[0:1], v[6:7], v[70:71]
	v_add_f64 v[2:3], v[4:5], v[68:69]
	s_mov_b32 s47, 0x3fe0d888
	s_mov_b32 s46, s28
	;; [unrolled: 1-line block ×16, first 2 shown]
	v_mul_f64 v[172:173], v[120:121], s[20:21]
	v_mul_f64 v[174:175], v[126:127], s[22:23]
	;; [unrolled: 1-line block ×17, first 2 shown]
	v_dual_mov_b32 v245, v211 :: v_dual_mov_b32 v244, v210
	v_dual_mov_b32 v243, v209 :: v_dual_mov_b32 v242, v208
	v_add_f64 v[0:1], v[66:67], v[0:1]
	v_add_f64 v[2:3], v[64:65], v[2:3]
	v_mul_f64 v[66:67], v[152:153], s[6:7]
	v_mul_f64 v[208:209], v[120:121], s[44:45]
	;; [unrolled: 1-line block ×17, first 2 shown]
	v_add_f64 v[0:1], v[62:63], v[0:1]
	v_add_f64 v[2:3], v[60:61], v[2:3]
	v_add_f64 v[66:67], v[66:67], -v[160:161]
	s_delay_alu instid0(VALU_DEP_3) | instskip(NEXT) | instid1(VALU_DEP_3)
	v_add_f64 v[0:1], v[58:59], v[0:1]
	v_add_f64 v[2:3], v[56:57], v[2:3]
	s_delay_alu instid0(VALU_DEP_2) | instskip(NEXT) | instid1(VALU_DEP_2)
	v_add_f64 v[0:1], v[54:55], v[0:1]
	v_add_f64 v[2:3], v[52:53], v[2:3]
	s_delay_alu instid0(VALU_DEP_2) | instskip(NEXT) | instid1(VALU_DEP_2)
	v_add_f64 v[0:1], v[50:51], v[0:1]
	v_add_f64 v[2:3], v[48:49], v[2:3]
	v_mul_f64 v[48:49], v[158:159], s[10:11]
	v_mul_f64 v[50:51], v[158:159], s[14:15]
	s_delay_alu instid0(VALU_DEP_4) | instskip(NEXT) | instid1(VALU_DEP_4)
	v_add_f64 v[0:1], v[46:47], v[0:1]
	v_add_f64 v[2:3], v[44:45], v[2:3]
	v_mul_f64 v[44:45], v[158:159], s[20:21]
	v_mul_f64 v[46:47], v[158:159], s[26:27]
	v_fma_f64 v[62:63], v[152:153], s[16:17], v[48:49]
	v_fma_f64 v[48:49], v[152:153], s[16:17], -v[48:49]
	v_fma_f64 v[64:65], v[152:153], s[18:19], v[50:51]
	v_fma_f64 v[50:51], v[152:153], s[18:19], -v[50:51]
	v_add_f64 v[0:1], v[42:43], v[0:1]
	v_add_f64 v[2:3], v[40:41], v[2:3]
	v_mul_f64 v[40:41], v[158:159], s[28:29]
	v_mul_f64 v[42:43], v[158:159], s[34:35]
	v_fma_f64 v[58:59], v[152:153], s[24:25], v[44:45]
	v_fma_f64 v[44:45], v[152:153], s[24:25], -v[44:45]
	v_fma_f64 v[60:61], v[152:153], s[22:23], v[46:47]
	v_fma_f64 v[46:47], v[152:153], s[22:23], -v[46:47]
	v_add_f64 v[170:171], v[4:5], v[62:63]
	v_add_f64 v[48:49], v[4:5], v[48:49]
	;; [unrolled: 1-line block ×4, first 2 shown]
	v_mul_f64 v[38:39], v[158:159], s[40:41]
	v_mul_f64 v[36:37], v[164:165], s[6:7]
	v_fma_f64 v[54:55], v[152:153], s[36:37], v[40:41]
	v_fma_f64 v[40:41], v[152:153], s[36:37], -v[40:41]
	v_fma_f64 v[56:57], v[152:153], s[30:31], v[42:43]
	v_fma_f64 v[42:43], v[152:153], s[30:31], -v[42:43]
	v_add_f64 v[58:59], v[4:5], v[58:59]
	v_add_f64 v[44:45], v[4:5], v[44:45]
	;; [unrolled: 1-line block ×6, first 2 shown]
	v_mul_f64 v[32:33], v[164:165], s[18:19]
	v_fma_f64 v[52:53], v[152:153], s[38:39], v[38:39]
	v_fma_f64 v[38:39], v[152:153], s[38:39], -v[38:39]
	v_add_f64 v[36:37], v[166:167], v[36:37]
	v_add_f64 v[54:55], v[4:5], v[54:55]
	;; [unrolled: 1-line block ×7, first 2 shown]
	v_mul_f64 v[28:29], v[164:165], s[16:17]
	v_fma_f64 v[34:35], v[162:163], s[54:55], v[32:33]
	v_fma_f64 v[32:33], v[162:163], s[14:15], v[32:33]
	v_add_f64 v[52:53], v[4:5], v[52:53]
	v_add_f64 v[38:39], v[4:5], v[38:39]
	;; [unrolled: 1-line block ×4, first 2 shown]
	v_mul_f64 v[24:25], v[164:165], s[22:23]
	v_fma_f64 v[30:31], v[162:163], s[50:51], v[28:29]
	v_fma_f64 v[28:29], v[162:163], s[10:11], v[28:29]
	v_add_f64 v[32:33], v[6:7], v[32:33]
	v_add_f64 v[0:1], v[22:23], v[0:1]
	v_add_f64 v[2:3], v[20:21], v[2:3]
	v_mul_f64 v[20:21], v[164:165], s[24:25]
	v_fma_f64 v[26:27], v[162:163], s[48:49], v[24:25]
	v_fma_f64 v[24:25], v[162:163], s[26:27], v[24:25]
	v_add_f64 v[168:169], v[6:7], v[30:31]
	v_add_f64 v[30:31], v[4:5], v[66:67]
	;; [unrolled: 1-line block ×4, first 2 shown]
	v_mul_f64 v[36:37], v[114:115], s[30:31]
	v_mul_f64 v[66:67], v[122:123], s[24:25]
	v_add_f64 v[0:1], v[18:19], v[0:1]
	v_add_f64 v[2:3], v[16:17], v[2:3]
	v_mul_f64 v[16:17], v[164:165], s[30:31]
	v_fma_f64 v[22:23], v[162:163], s[56:57], v[20:21]
	v_fma_f64 v[20:21], v[162:163], s[20:21], v[20:21]
	v_add_f64 v[166:167], v[6:7], v[26:27]
	v_add_f64 v[42:43], v[6:7], v[24:25]
	v_mul_f64 v[24:25], v[110:111], s[18:19]
	v_mul_f64 v[26:27], v[108:109], s[54:55]
	v_add_f64 v[0:1], v[14:15], v[0:1]
	v_add_f64 v[2:3], v[12:13], v[2:3]
	v_mul_f64 v[12:13], v[164:165], s[36:37]
	v_fma_f64 v[18:19], v[162:163], s[44:45], v[16:17]
	v_fma_f64 v[16:17], v[162:163], s[34:35], v[16:17]
	v_add_f64 v[10:11], v[10:11], v[0:1]
	v_mul_f64 v[0:1], v[164:165], s[38:39]
	v_fma_f64 v[14:15], v[162:163], s[46:47], v[12:13]
	v_fma_f64 v[12:13], v[162:163], s[28:29], v[12:13]
	v_add_f64 v[8:9], v[8:9], v[2:3]
	v_add_f64 v[152:153], v[6:7], v[18:19]
	v_add_f64 v[158:159], v[6:7], v[16:17]
	v_add_f64 v[164:165], v[6:7], v[20:21]
	v_add_f64 v[18:19], v[6:7], v[34:35]
	v_add_f64 v[16:17], v[4:5], v[64:65]
	v_add_f64 v[34:35], v[4:5], v[50:51]
	v_mul_f64 v[20:21], v[106:107], s[36:37]
	v_mul_f64 v[50:51], v[112:113], s[34:35]
	;; [unrolled: 1-line block ×3, first 2 shown]
	v_fma_f64 v[2:3], v[162:163], s[42:43], v[0:1]
	v_fma_f64 v[0:1], v[162:163], s[40:41], v[0:1]
	v_add_f64 v[70:71], v[6:7], v[12:13]
	v_mul_f64 v[12:13], v[102:103], s[6:7]
	v_add_f64 v[68:69], v[6:7], v[14:15]
	v_mul_f64 v[14:15], v[98:99], s[52:53]
	v_add_f64 v[162:163], v[6:7], v[22:23]
	v_mul_f64 v[22:23], v[104:105], s[28:29]
	v_add_f64 v[2:3], v[6:7], v[2:3]
	v_add_f64 v[0:1], v[6:7], v[0:1]
	v_fma_f64 v[6:7], v[76:77], s[46:47], v[20:21]
	v_fma_f64 v[4:5], v[72:73], s[0:1], v[12:13]
	;; [unrolled: 1-line block ×3, first 2 shown]
	s_delay_alu instid0(VALU_DEP_2) | instskip(SKIP_1) | instid1(VALU_DEP_3)
	v_add_f64 v[2:3], v[4:5], v[2:3]
	v_fma_f64 v[4:5], v[74:75], s[6:7], v[14:15]
	v_add_f64 v[0:1], v[12:13], v[0:1]
	v_fma_f64 v[12:13], v[74:75], s[6:7], -v[14:15]
	v_fma_f64 v[14:15], v[76:77], s[28:29], v[20:21]
	v_add_f64 v[2:3], v[6:7], v[2:3]
	v_add_f64 v[4:5], v[4:5], v[52:53]
	v_fma_f64 v[6:7], v[78:79], s[36:37], v[22:23]
	v_add_f64 v[12:13], v[12:13], v[38:39]
	v_add_f64 v[0:1], v[14:15], v[0:1]
	v_fma_f64 v[14:15], v[78:79], s[36:37], -v[22:23]
	v_mul_f64 v[52:53], v[118:119], s[16:17]
	v_mul_f64 v[38:39], v[110:111], s[30:31]
	v_add_f64 v[4:5], v[6:7], v[4:5]
	v_fma_f64 v[6:7], v[80:81], s[14:15], v[24:25]
	v_add_f64 v[12:13], v[14:15], v[12:13]
	v_fma_f64 v[14:15], v[80:81], s[54:55], v[24:25]
	v_mul_f64 v[24:25], v[98:99], s[50:51]
	s_delay_alu instid0(VALU_DEP_4) | instskip(SKIP_1) | instid1(VALU_DEP_4)
	v_add_f64 v[2:3], v[6:7], v[2:3]
	v_fma_f64 v[6:7], v[82:83], s[18:19], v[26:27]
	v_add_f64 v[0:1], v[14:15], v[0:1]
	v_fma_f64 v[14:15], v[82:83], s[18:19], -v[26:27]
	v_mul_f64 v[26:27], v[106:107], s[22:23]
	v_fma_f64 v[20:21], v[74:75], s[16:17], v[24:25]
	v_fma_f64 v[24:25], v[74:75], s[16:17], -v[24:25]
	v_add_f64 v[4:5], v[6:7], v[4:5]
	v_fma_f64 v[6:7], v[84:85], s[44:45], v[36:37]
	v_add_f64 v[12:13], v[14:15], v[12:13]
	v_fma_f64 v[14:15], v[84:85], s[34:35], v[36:37]
	v_fma_f64 v[22:23], v[76:77], s[48:49], v[26:27]
	v_mul_f64 v[36:37], v[104:105], s[26:27]
	v_add_f64 v[20:21], v[20:21], v[54:55]
	v_fma_f64 v[26:27], v[76:77], s[26:27], v[26:27]
	v_add_f64 v[24:25], v[24:25], v[40:41]
	v_mul_f64 v[54:55], v[112:113], s[0:1]
	v_mul_f64 v[40:41], v[110:111], s[22:23]
	v_add_f64 v[2:3], v[6:7], v[2:3]
	v_fma_f64 v[6:7], v[86:87], s[30:31], v[50:51]
	v_add_f64 v[0:1], v[14:15], v[0:1]
	v_fma_f64 v[14:15], v[86:87], s[30:31], -v[50:51]
	v_mul_f64 v[50:51], v[108:109], s[44:45]
	v_add_f64 v[40:41], v[138:139], v[40:41]
	v_mul_f64 v[138:139], v[118:119], s[24:25]
	v_add_f64 v[4:5], v[6:7], v[4:5]
	v_fma_f64 v[6:7], v[88:89], s[10:11], v[52:53]
	v_add_f64 v[12:13], v[14:15], v[12:13]
	v_fma_f64 v[14:15], v[88:89], s[50:51], v[52:53]
	v_mul_f64 v[52:53], v[114:115], s[6:7]
	s_delay_alu instid0(VALU_DEP_4) | instskip(SKIP_1) | instid1(VALU_DEP_4)
	v_add_f64 v[2:3], v[6:7], v[2:3]
	v_fma_f64 v[6:7], v[90:91], s[16:17], v[64:65]
	v_add_f64 v[0:1], v[14:15], v[0:1]
	v_fma_f64 v[14:15], v[90:91], s[16:17], -v[64:65]
	v_mul_f64 v[64:65], v[118:119], s[38:39]
	s_delay_alu instid0(VALU_DEP_4) | instskip(SKIP_1) | instid1(VALU_DEP_4)
	v_add_f64 v[4:5], v[6:7], v[4:5]
	v_fma_f64 v[6:7], v[92:93], s[56:57], v[66:67]
	v_add_f64 v[12:13], v[14:15], v[12:13]
	v_fma_f64 v[14:15], v[92:93], s[20:21], v[66:67]
	v_mul_f64 v[66:67], v[116:117], s[40:41]
	s_delay_alu instid0(VALU_DEP_4) | instskip(SKIP_1) | instid1(VALU_DEP_4)
	v_add_f64 v[2:3], v[6:7], v[2:3]
	v_fma_f64 v[6:7], v[94:95], s[24:25], v[172:173]
	v_add_f64 v[0:1], v[14:15], v[0:1]
	v_fma_f64 v[14:15], v[94:95], s[24:25], -v[172:173]
	v_mul_f64 v[172:173], v[120:121], s[54:55]
	s_delay_alu instid0(VALU_DEP_4) | instskip(SKIP_1) | instid1(VALU_DEP_4)
	v_add_f64 v[4:5], v[6:7], v[4:5]
	v_fma_f64 v[6:7], v[96:97], s[26:27], v[174:175]
	v_add_f64 v[12:13], v[14:15], v[12:13]
	v_fma_f64 v[14:15], v[96:97], s[48:49], v[174:175]
	v_mul_f64 v[174:175], v[126:127], s[24:25]
	s_delay_alu instid0(VALU_DEP_4) | instskip(SKIP_1) | instid1(VALU_DEP_4)
	v_add_f64 v[6:7], v[6:7], v[2:3]
	v_mul_f64 v[2:3], v[124:125], s[48:49]
	v_add_f64 v[14:15], v[14:15], v[0:1]
	v_mul_f64 v[0:1], v[102:103], s[16:17]
	s_delay_alu instid0(VALU_DEP_3) | instskip(SKIP_1) | instid1(VALU_DEP_2)
	v_fma_f64 v[176:177], v[100:101], s[22:23], v[2:3]
	v_fma_f64 v[2:3], v[100:101], s[22:23], -v[2:3]
	v_add_f64 v[4:5], v[176:177], v[4:5]
	s_delay_alu instid0(VALU_DEP_2) | instskip(SKIP_2) | instid1(VALU_DEP_2)
	v_add_f64 v[12:13], v[2:3], v[12:13]
	v_fma_f64 v[2:3], v[72:73], s[10:11], v[0:1]
	v_fma_f64 v[0:1], v[72:73], s[50:51], v[0:1]
	v_add_f64 v[2:3], v[2:3], v[68:69]
	s_delay_alu instid0(VALU_DEP_2) | instskip(SKIP_2) | instid1(VALU_DEP_4)
	v_add_f64 v[0:1], v[0:1], v[70:71]
	v_mul_f64 v[68:69], v[122:123], s[18:19]
	v_mul_f64 v[70:71], v[106:107], s[30:31]
	v_add_f64 v[2:3], v[22:23], v[2:3]
	v_fma_f64 v[22:23], v[78:79], s[22:23], v[36:37]
	v_add_f64 v[0:1], v[26:27], v[0:1]
	v_fma_f64 v[26:27], v[78:79], s[22:23], -v[36:37]
	v_mul_f64 v[36:37], v[106:107], s[16:17]
	s_delay_alu instid0(VALU_DEP_4) | instskip(SKIP_1) | instid1(VALU_DEP_4)
	v_add_f64 v[20:21], v[22:23], v[20:21]
	v_fma_f64 v[22:23], v[80:81], s[34:35], v[38:39]
	v_add_f64 v[24:25], v[26:27], v[24:25]
	v_fma_f64 v[26:27], v[80:81], s[44:45], v[38:39]
	v_add_f64 v[36:37], v[134:135], v[36:37]
	v_mul_f64 v[38:39], v[78:79], s[16:17]
	v_mul_f64 v[134:135], v[114:115], s[36:37]
	v_add_f64 v[2:3], v[22:23], v[2:3]
	v_fma_f64 v[22:23], v[82:83], s[30:31], v[50:51]
	v_add_f64 v[0:1], v[26:27], v[0:1]
	v_fma_f64 v[26:27], v[82:83], s[30:31], -v[50:51]
	v_add_f64 v[38:39], v[38:39], -v[132:133]
	v_mul_f64 v[50:51], v[82:83], s[22:23]
	v_mul_f64 v[132:133], v[108:109], s[40:41]
	v_add_f64 v[20:21], v[22:23], v[20:21]
	v_fma_f64 v[22:23], v[84:85], s[52:53], v[52:53]
	v_add_f64 v[24:25], v[26:27], v[24:25]
	v_fma_f64 v[26:27], v[84:85], s[0:1], v[52:53]
	v_mul_f64 v[52:53], v[114:115], s[24:25]
	v_add_f64 v[50:51], v[50:51], -v[136:137]
	v_mul_f64 v[136:137], v[112:113], s[46:47]
	v_add_f64 v[2:3], v[22:23], v[2:3]
	v_fma_f64 v[22:23], v[86:87], s[6:7], v[54:55]
	v_add_f64 v[0:1], v[26:27], v[0:1]
	v_fma_f64 v[26:27], v[86:87], s[6:7], -v[54:55]
	v_add_f64 v[52:53], v[142:143], v[52:53]
	v_mul_f64 v[54:55], v[86:87], s[24:25]
	v_mul_f64 v[142:143], v[122:123], s[16:17]
	v_add_f64 v[20:21], v[22:23], v[20:21]
	v_fma_f64 v[22:23], v[88:89], s[42:43], v[64:65]
	v_add_f64 v[24:25], v[26:27], v[24:25]
	v_fma_f64 v[26:27], v[88:89], s[40:41], v[64:65]
	v_mul_f64 v[64:65], v[118:119], s[30:31]
	v_add_f64 v[54:55], v[54:55], -v[140:141]
	v_mul_f64 v[140:141], v[116:117], s[56:57]
	v_add_f64 v[2:3], v[22:23], v[2:3]
	v_fma_f64 v[22:23], v[90:91], s[38:39], v[66:67]
	v_add_f64 v[0:1], v[26:27], v[0:1]
	v_fma_f64 v[26:27], v[90:91], s[38:39], -v[66:67]
	v_add_f64 v[64:65], v[146:147], v[64:65]
	v_mul_f64 v[146:147], v[126:127], s[6:7]
	v_mul_f64 v[66:67], v[98:99], s[34:35]
	v_add_f64 v[20:21], v[22:23], v[20:21]
	v_fma_f64 v[22:23], v[92:93], s[14:15], v[68:69]
	v_add_f64 v[24:25], v[26:27], v[24:25]
	v_fma_f64 v[26:27], v[92:93], s[54:55], v[68:69]
	v_mul_f64 v[68:69], v[98:99], s[26:27]
	s_delay_alu instid0(VALU_DEP_4) | instskip(SKIP_1) | instid1(VALU_DEP_4)
	v_add_f64 v[2:3], v[22:23], v[2:3]
	v_fma_f64 v[22:23], v[94:95], s[18:19], v[172:173]
	v_add_f64 v[0:1], v[26:27], v[0:1]
	v_fma_f64 v[26:27], v[94:95], s[18:19], -v[172:173]
	v_mul_f64 v[172:173], v[114:115], s[18:19]
	s_delay_alu instid0(VALU_DEP_4) | instskip(SKIP_1) | instid1(VALU_DEP_4)
	v_add_f64 v[20:21], v[22:23], v[20:21]
	v_fma_f64 v[22:23], v[96:97], s[56:57], v[174:175]
	v_add_f64 v[24:25], v[26:27], v[24:25]
	v_fma_f64 v[26:27], v[96:97], s[20:21], v[174:175]
	v_mul_f64 v[174:175], v[112:113], s[54:55]
	s_delay_alu instid0(VALU_DEP_4) | instskip(SKIP_1) | instid1(VALU_DEP_4)
	v_add_f64 v[22:23], v[22:23], v[2:3]
	v_mul_f64 v[2:3], v[124:125], s[20:21]
	v_add_f64 v[26:27], v[26:27], v[0:1]
	v_mul_f64 v[0:1], v[102:103], s[18:19]
	s_delay_alu instid0(VALU_DEP_3) | instskip(SKIP_1) | instid1(VALU_DEP_3)
	v_fma_f64 v[176:177], v[100:101], s[24:25], v[2:3]
	v_fma_f64 v[2:3], v[100:101], s[24:25], -v[2:3]
	v_add_f64 v[0:1], v[130:131], v[0:1]
	v_mul_f64 v[130:131], v[110:111], s[38:39]
	s_delay_alu instid0(VALU_DEP_4) | instskip(NEXT) | instid1(VALU_DEP_4)
	v_add_f64 v[20:21], v[176:177], v[20:21]
	v_add_f64 v[24:25], v[2:3], v[24:25]
	v_mul_f64 v[2:3], v[74:75], s[18:19]
	v_add_f64 v[0:1], v[0:1], v[28:29]
	v_mul_f64 v[28:29], v[90:91], s[30:31]
	v_mul_f64 v[176:177], v[118:119], s[6:7]
	s_delay_alu instid0(VALU_DEP_4) | instskip(NEXT) | instid1(VALU_DEP_4)
	v_add_f64 v[2:3], v[2:3], -v[128:129]
	v_add_f64 v[0:1], v[36:37], v[0:1]
	s_delay_alu instid0(VALU_DEP_4)
	v_add_f64 v[28:29], v[28:29], -v[144:145]
	v_mul_f64 v[36:37], v[94:95], s[36:37]
	v_mul_f64 v[128:129], v[104:105], s[34:35]
	;; [unrolled: 1-line block ×3, first 2 shown]
	v_add_f64 v[2:3], v[2:3], v[30:31]
	v_add_f64 v[0:1], v[40:41], v[0:1]
	v_mul_f64 v[30:31], v[122:123], s[36:37]
	v_add_f64 v[36:37], v[36:37], -v[148:149]
	v_mul_f64 v[148:149], v[106:107], s[38:39]
	v_add_f64 v[2:3], v[38:39], v[2:3]
	v_add_f64 v[0:1], v[52:53], v[0:1]
	;; [unrolled: 1-line block ×3, first 2 shown]
	v_mul_f64 v[38:39], v[126:127], s[38:39]
	v_fma_f64 v[40:41], v[76:77], s[42:43], v[148:149]
	v_mul_f64 v[150:151], v[104:105], s[42:43]
	v_mul_f64 v[52:53], v[102:103], s[24:25]
	v_add_f64 v[2:3], v[50:51], v[2:3]
	v_add_f64 v[0:1], v[64:65], v[0:1]
	v_mul_f64 v[64:65], v[102:103], s[30:31]
	v_add_f64 v[38:39], v[156:157], v[38:39]
	v_mul_f64 v[156:157], v[108:109], s[56:57]
	v_add_f64 v[2:3], v[54:55], v[2:3]
	v_add_f64 v[0:1], v[30:31], v[0:1]
	v_mul_f64 v[54:55], v[98:99], s[56:57]
	s_delay_alu instid0(VALU_DEP_3) | instskip(SKIP_1) | instid1(VALU_DEP_4)
	v_add_f64 v[2:3], v[28:29], v[2:3]
	v_mul_f64 v[28:29], v[100:101], s[38:39]
	v_add_f64 v[30:31], v[38:39], v[0:1]
	v_mul_f64 v[0:1], v[102:103], s[22:23]
	v_fma_f64 v[38:39], v[74:75], s[30:31], -v[66:67]
	v_fma_f64 v[50:51], v[74:75], s[24:25], -v[54:55]
	v_fma_f64 v[54:55], v[74:75], s[24:25], v[54:55]
	v_fma_f64 v[66:67], v[74:75], s[30:31], v[66:67]
	v_add_f64 v[2:3], v[36:37], v[2:3]
	v_add_f64 v[28:29], v[28:29], -v[154:155]
	v_mul_f64 v[154:155], v[110:111], s[24:25]
	v_add_f64 v[38:39], v[38:39], v[48:49]
	v_add_f64 v[50:51], v[50:51], v[160:161]
	;; [unrolled: 1-line block ×5, first 2 shown]
	v_fma_f64 v[2:3], v[72:73], s[26:27], v[0:1]
	v_fma_f64 v[0:1], v[72:73], s[48:49], v[0:1]
	s_delay_alu instid0(VALU_DEP_2) | instskip(SKIP_2) | instid1(VALU_DEP_4)
	v_add_f64 v[2:3], v[2:3], v[32:33]
	v_fma_f64 v[32:33], v[74:75], s[22:23], -v[68:69]
	v_fma_f64 v[68:69], v[74:75], s[22:23], v[68:69]
	v_add_f64 v[0:1], v[0:1], v[18:19]
	v_fma_f64 v[18:19], v[78:79], s[30:31], v[128:129]
	s_delay_alu instid0(VALU_DEP_4) | instskip(SKIP_4) | instid1(VALU_DEP_4)
	v_add_f64 v[32:33], v[32:33], v[34:35]
	v_fma_f64 v[34:35], v[76:77], s[34:35], v[70:71]
	v_fma_f64 v[70:71], v[76:77], s[44:45], v[70:71]
	v_add_f64 v[16:17], v[68:69], v[16:17]
	v_fma_f64 v[68:69], v[80:81], s[42:43], v[130:131]
	v_add_f64 v[2:3], v[34:35], v[2:3]
	v_fma_f64 v[34:35], v[78:79], s[30:31], -v[128:129]
	v_add_f64 v[0:1], v[70:71], v[0:1]
	v_fma_f64 v[70:71], v[82:83], s[38:39], v[132:133]
	v_add_f64 v[16:17], v[18:19], v[16:17]
	v_fma_f64 v[18:19], v[84:85], s[28:29], v[134:135]
	v_add_f64 v[32:33], v[34:35], v[32:33]
	v_fma_f64 v[34:35], v[80:81], s[40:41], v[130:131]
	v_add_f64 v[0:1], v[68:69], v[0:1]
	v_fma_f64 v[68:69], v[86:87], s[36:37], v[136:137]
	v_add_f64 v[16:17], v[70:71], v[16:17]
	v_fma_f64 v[70:71], v[88:89], s[20:21], v[138:139]
	v_add_f64 v[2:3], v[34:35], v[2:3]
	v_fma_f64 v[34:35], v[82:83], s[38:39], -v[132:133]
	v_add_f64 v[0:1], v[18:19], v[0:1]
	v_fma_f64 v[18:19], v[90:91], s[24:25], v[140:141]
	v_add_f64 v[16:17], v[68:69], v[16:17]
	v_fma_f64 v[68:69], v[92:93], s[10:11], v[142:143]
	;; [unrolled: 2-line block ×3, first 2 shown]
	v_add_f64 v[0:1], v[70:71], v[0:1]
	v_add_f64 v[16:17], v[18:19], v[16:17]
	v_fma_f64 v[18:19], v[96:97], s[0:1], v[146:147]
	v_fma_f64 v[70:71], v[94:95], s[16:17], v[144:145]
	v_add_f64 v[2:3], v[34:35], v[2:3]
	v_fma_f64 v[34:35], v[86:87], s[36:37], -v[136:137]
	v_add_f64 v[0:1], v[68:69], v[0:1]
	s_delay_alu instid0(VALU_DEP_4) | instskip(NEXT) | instid1(VALU_DEP_3)
	v_add_f64 v[16:17], v[70:71], v[16:17]
	v_add_f64 v[32:33], v[34:35], v[32:33]
	v_fma_f64 v[34:35], v[88:89], s[56:57], v[138:139]
	s_delay_alu instid0(VALU_DEP_4) | instskip(SKIP_2) | instid1(VALU_DEP_1)
	v_add_f64 v[18:19], v[18:19], v[0:1]
	scratch_load_b32 v1, off, off           ; 4-byte Folded Reload
	v_mul_lo_u16 v0, v246, 17
	v_and_b32_e32 v0, 0xffff, v0
	v_add_f64 v[2:3], v[34:35], v[2:3]
	v_fma_f64 v[34:35], v[90:91], s[24:25], -v[140:141]
	s_delay_alu instid0(VALU_DEP_1) | instskip(SKIP_1) | instid1(VALU_DEP_1)
	v_add_f64 v[32:33], v[34:35], v[32:33]
	v_fma_f64 v[34:35], v[92:93], s[50:51], v[142:143]
	v_add_f64 v[2:3], v[34:35], v[2:3]
	v_fma_f64 v[34:35], v[94:95], s[16:17], -v[144:145]
	s_delay_alu instid0(VALU_DEP_1) | instskip(SKIP_1) | instid1(VALU_DEP_1)
	v_add_f64 v[32:33], v[34:35], v[32:33]
	v_fma_f64 v[34:35], v[96:97], s[52:53], v[146:147]
	v_add_f64 v[34:35], v[34:35], v[2:3]
	v_mul_f64 v[2:3], v[124:125], s[52:53]
	v_mul_f64 v[124:125], v[124:125], s[50:51]
	s_delay_alu instid0(VALU_DEP_2) | instskip(SKIP_1) | instid1(VALU_DEP_2)
	v_fma_f64 v[36:37], v[100:101], s[6:7], -v[2:3]
	v_fma_f64 v[2:3], v[100:101], s[6:7], v[2:3]
	v_add_f64 v[32:33], v[36:37], v[32:33]
	v_fma_f64 v[36:37], v[72:73], s[34:35], v[64:65]
	v_fma_f64 v[64:65], v[72:73], s[44:45], v[64:65]
	s_delay_alu instid0(VALU_DEP_4) | instskip(NEXT) | instid1(VALU_DEP_3)
	v_add_f64 v[16:17], v[2:3], v[16:17]
	v_add_f64 v[36:37], v[36:37], v[62:63]
	v_mul_f64 v[62:63], v[102:103], s[38:39]
	s_delay_alu instid0(VALU_DEP_4) | instskip(SKIP_2) | instid1(VALU_DEP_4)
	v_add_f64 v[64:65], v[64:65], v[168:169]
	s_waitcnt vmcnt(0)
	v_add_lshl_u32 v0, v1, v0, 4
	v_add_f64 v[36:37], v[40:41], v[36:37]
	v_fma_f64 v[40:41], v[78:79], s[38:39], -v[150:151]
	s_delay_alu instid0(VALU_DEP_1) | instskip(SKIP_1) | instid1(VALU_DEP_1)
	v_add_f64 v[38:39], v[40:41], v[38:39]
	v_fma_f64 v[40:41], v[80:81], s[56:57], v[154:155]
	v_add_f64 v[36:37], v[40:41], v[36:37]
	v_fma_f64 v[40:41], v[82:83], s[24:25], -v[156:157]
	s_delay_alu instid0(VALU_DEP_1) | instskip(SKIP_1) | instid1(VALU_DEP_1)
	v_add_f64 v[38:39], v[40:41], v[38:39]
	v_fma_f64 v[40:41], v[84:85], s[54:55], v[172:173]
	;; [unrolled: 5-line block ×5, first 2 shown]
	v_add_f64 v[38:39], v[38:39], v[36:37]
	v_fma_f64 v[36:37], v[100:101], s[36:37], -v[186:187]
	s_delay_alu instid0(VALU_DEP_1) | instskip(SKIP_2) | instid1(VALU_DEP_2)
	v_add_f64 v[36:37], v[36:37], v[40:41]
	v_fma_f64 v[40:41], v[72:73], s[40:41], v[62:63]
	v_fma_f64 v[62:63], v[72:73], s[42:43], v[62:63]
	v_add_f64 v[40:41], v[40:41], v[42:43]
	v_fma_f64 v[42:43], v[74:75], s[38:39], -v[188:189]
	s_delay_alu instid0(VALU_DEP_3) | instskip(NEXT) | instid1(VALU_DEP_2)
	v_add_f64 v[62:63], v[62:63], v[166:167]
	v_add_f64 v[42:43], v[42:43], v[46:47]
	v_fma_f64 v[46:47], v[76:77], s[56:57], v[190:191]
	s_delay_alu instid0(VALU_DEP_1) | instskip(SKIP_1) | instid1(VALU_DEP_1)
	v_add_f64 v[40:41], v[46:47], v[40:41]
	v_fma_f64 v[46:47], v[78:79], s[24:25], -v[192:193]
	v_add_f64 v[42:43], v[46:47], v[42:43]
	v_fma_f64 v[46:47], v[80:81], s[52:53], v[194:195]
	s_delay_alu instid0(VALU_DEP_1) | instskip(SKIP_1) | instid1(VALU_DEP_1)
	v_add_f64 v[40:41], v[46:47], v[40:41]
	v_fma_f64 v[46:47], v[82:83], s[6:7], -v[196:197]
	v_add_f64 v[42:43], v[46:47], v[42:43]
	v_fma_f64 v[46:47], v[84:85], s[10:11], v[198:199]
	s_delay_alu instid0(VALU_DEP_1) | instskip(SKIP_1) | instid1(VALU_DEP_1)
	v_add_f64 v[40:41], v[46:47], v[40:41]
	v_fma_f64 v[46:47], v[86:87], s[16:17], -v[200:201]
	v_add_f64 v[42:43], v[46:47], v[42:43]
	v_fma_f64 v[46:47], v[88:89], s[28:29], v[202:203]
	s_delay_alu instid0(VALU_DEP_1) | instskip(SKIP_1) | instid1(VALU_DEP_1)
	v_add_f64 v[40:41], v[46:47], v[40:41]
	v_fma_f64 v[46:47], v[90:91], s[36:37], -v[204:205]
	v_add_f64 v[42:43], v[46:47], v[42:43]
	v_fma_f64 v[46:47], v[92:93], s[44:45], v[206:207]
	s_delay_alu instid0(VALU_DEP_1) | instskip(SKIP_1) | instid1(VALU_DEP_1)
	v_add_f64 v[40:41], v[46:47], v[40:41]
	v_fma_f64 v[46:47], v[94:95], s[30:31], -v[208:209]
	v_add_f64 v[46:47], v[46:47], v[42:43]
	v_fma_f64 v[42:43], v[96:97], s[54:55], v[210:211]
	s_delay_alu instid0(VALU_DEP_1) | instskip(SKIP_1) | instid1(VALU_DEP_1)
	v_add_f64 v[42:43], v[42:43], v[40:41]
	v_fma_f64 v[40:41], v[100:101], s[18:19], -v[212:213]
	v_add_f64 v[40:41], v[40:41], v[46:47]
	v_fma_f64 v[46:47], v[72:73], s[46:47], v[214:215]
	s_delay_alu instid0(VALU_DEP_1) | instskip(SKIP_2) | instid1(VALU_DEP_2)
	v_add_f64 v[46:47], v[46:47], v[164:165]
	v_mul_f64 v[164:165], v[98:99], s[46:47]
	v_mul_f64 v[98:99], v[106:107], s[6:7]
	v_fma_f64 v[48:49], v[74:75], s[36:37], -v[164:165]
	s_delay_alu instid0(VALU_DEP_2) | instskip(SKIP_2) | instid1(VALU_DEP_4)
	v_fma_f64 v[102:103], v[76:77], s[0:1], v[98:99]
	v_fma_f64 v[56:57], v[76:77], s[52:53], v[98:99]
	;; [unrolled: 1-line block ×3, first 2 shown]
	v_add_f64 v[44:45], v[48:49], v[44:45]
	v_fma_f64 v[48:49], v[76:77], s[54:55], v[216:217]
	s_delay_alu instid0(VALU_DEP_1) | instskip(SKIP_1) | instid1(VALU_DEP_1)
	v_add_f64 v[46:47], v[48:49], v[46:47]
	v_fma_f64 v[48:49], v[78:79], s[18:19], -v[218:219]
	v_add_f64 v[44:45], v[48:49], v[44:45]
	v_fma_f64 v[48:49], v[80:81], s[10:11], v[220:221]
	s_delay_alu instid0(VALU_DEP_1) | instskip(SKIP_1) | instid1(VALU_DEP_1)
	v_add_f64 v[46:47], v[48:49], v[46:47]
	v_fma_f64 v[48:49], v[82:83], s[16:17], -v[222:223]
	;; [unrolled: 5-line block ×6, first 2 shown]
	v_add_f64 v[44:45], v[48:49], v[44:45]
	v_fma_f64 v[48:49], v[72:73], s[56:57], v[52:53]
	v_fma_f64 v[52:53], v[72:73], s[20:21], v[52:53]
	s_delay_alu instid0(VALU_DEP_2) | instskip(NEXT) | instid1(VALU_DEP_2)
	v_add_f64 v[48:49], v[48:49], v[158:159]
	v_add_f64 v[52:53], v[52:53], v[152:153]
	s_delay_alu instid0(VALU_DEP_2) | instskip(SKIP_1) | instid1(VALU_DEP_3)
	v_add_f64 v[48:49], v[102:103], v[48:49]
	v_mul_f64 v[102:103], v[104:105], s[0:1]
	v_add_f64 v[52:53], v[56:57], v[52:53]
	s_delay_alu instid0(VALU_DEP_2) | instskip(SKIP_2) | instid1(VALU_DEP_3)
	v_fma_f64 v[104:105], v[78:79], s[6:7], -v[102:103]
	v_fma_f64 v[56:57], v[78:79], s[6:7], v[102:103]
	v_fma_f64 v[102:103], v[100:101], s[30:31], v[240:241]
	v_add_f64 v[50:51], v[104:105], v[50:51]
	v_mul_f64 v[104:105], v[110:111], s[36:37]
	s_delay_alu instid0(VALU_DEP_4) | instskip(NEXT) | instid1(VALU_DEP_2)
	v_add_f64 v[54:55], v[56:57], v[54:55]
	v_fma_f64 v[106:107], v[80:81], s[28:29], v[104:105]
	v_fma_f64 v[56:57], v[80:81], s[46:47], v[104:105]
	s_delay_alu instid0(VALU_DEP_2) | instskip(SKIP_1) | instid1(VALU_DEP_3)
	v_add_f64 v[48:49], v[106:107], v[48:49]
	v_mul_f64 v[106:107], v[108:109], s[28:29]
	v_add_f64 v[52:53], v[56:57], v[52:53]
	s_delay_alu instid0(VALU_DEP_2) | instskip(SKIP_1) | instid1(VALU_DEP_2)
	v_fma_f64 v[108:109], v[82:83], s[36:37], -v[106:107]
	v_fma_f64 v[56:57], v[82:83], s[36:37], v[106:107]
	v_add_f64 v[50:51], v[108:109], v[50:51]
	v_mul_f64 v[108:109], v[114:115], s[22:23]
	s_delay_alu instid0(VALU_DEP_3) | instskip(NEXT) | instid1(VALU_DEP_2)
	v_add_f64 v[54:55], v[56:57], v[54:55]
	v_fma_f64 v[110:111], v[84:85], s[48:49], v[108:109]
	v_fma_f64 v[56:57], v[84:85], s[26:27], v[108:109]
	s_delay_alu instid0(VALU_DEP_2) | instskip(SKIP_1) | instid1(VALU_DEP_3)
	v_add_f64 v[48:49], v[110:111], v[48:49]
	v_mul_f64 v[110:111], v[112:113], s[48:49]
	v_add_f64 v[52:53], v[56:57], v[52:53]
	s_delay_alu instid0(VALU_DEP_2) | instskip(SKIP_1) | instid1(VALU_DEP_2)
	v_fma_f64 v[112:113], v[86:87], s[22:23], -v[110:111]
	v_fma_f64 v[56:57], v[86:87], s[22:23], v[110:111]
	v_add_f64 v[50:51], v[112:113], v[50:51]
	v_mul_f64 v[112:113], v[118:119], s[18:19]
	s_delay_alu instid0(VALU_DEP_3) | instskip(NEXT) | instid1(VALU_DEP_2)
	v_add_f64 v[54:55], v[56:57], v[54:55]
	v_fma_f64 v[114:115], v[88:89], s[14:15], v[112:113]
	v_fma_f64 v[56:57], v[88:89], s[54:55], v[112:113]
	s_delay_alu instid0(VALU_DEP_2) | instskip(SKIP_1) | instid1(VALU_DEP_3)
	v_add_f64 v[48:49], v[114:115], v[48:49]
	v_mul_f64 v[114:115], v[116:117], s[14:15]
	v_add_f64 v[52:53], v[56:57], v[52:53]
	s_delay_alu instid0(VALU_DEP_2) | instskip(SKIP_1) | instid1(VALU_DEP_2)
	v_fma_f64 v[116:117], v[90:91], s[18:19], -v[114:115]
	v_fma_f64 v[56:57], v[90:91], s[18:19], v[114:115]
	v_add_f64 v[50:51], v[116:117], v[50:51]
	v_mul_f64 v[116:117], v[122:123], s[38:39]
	s_delay_alu instid0(VALU_DEP_3) | instskip(SKIP_1) | instid1(VALU_DEP_3)
	v_add_f64 v[54:55], v[56:57], v[54:55]
	v_mul_f64 v[122:123], v[126:127], s[16:17]
	v_fma_f64 v[118:119], v[92:93], s[40:41], v[116:117]
	v_fma_f64 v[56:57], v[92:93], s[42:43], v[116:117]
	s_delay_alu instid0(VALU_DEP_2) | instskip(SKIP_1) | instid1(VALU_DEP_3)
	v_add_f64 v[48:49], v[118:119], v[48:49]
	v_mul_f64 v[118:119], v[120:121], s[40:41]
	v_add_f64 v[52:53], v[56:57], v[52:53]
	s_delay_alu instid0(VALU_DEP_2) | instskip(SKIP_1) | instid1(VALU_DEP_2)
	v_fma_f64 v[56:57], v[94:95], s[38:39], v[118:119]
	v_fma_f64 v[120:121], v[94:95], s[38:39], -v[118:119]
	v_add_f64 v[56:57], v[56:57], v[54:55]
	v_fma_f64 v[54:55], v[96:97], s[10:11], v[122:123]
	s_delay_alu instid0(VALU_DEP_3) | instskip(SKIP_1) | instid1(VALU_DEP_3)
	v_add_f64 v[120:121], v[120:121], v[50:51]
	v_fma_f64 v[50:51], v[96:97], s[50:51], v[122:123]
	v_add_f64 v[54:55], v[54:55], v[52:53]
	v_add_f64 v[52:53], v[98:99], v[56:57]
	v_fma_f64 v[56:57], v[72:73], s[28:29], v[214:215]
	v_fma_f64 v[98:99], v[74:75], s[36:37], v[164:165]
	v_add_f64 v[50:51], v[50:51], v[48:49]
	v_fma_f64 v[48:49], v[100:101], s[16:17], -v[124:125]
	s_delay_alu instid0(VALU_DEP_4) | instskip(NEXT) | instid1(VALU_DEP_4)
	v_add_f64 v[56:57], v[56:57], v[162:163]
	v_add_f64 v[58:59], v[98:99], v[58:59]
	v_fma_f64 v[98:99], v[76:77], s[14:15], v[216:217]
	s_delay_alu instid0(VALU_DEP_4) | instskip(NEXT) | instid1(VALU_DEP_2)
	v_add_f64 v[48:49], v[48:49], v[120:121]
	v_add_f64 v[56:57], v[98:99], v[56:57]
	v_fma_f64 v[98:99], v[78:79], s[18:19], v[218:219]
	s_delay_alu instid0(VALU_DEP_1) | instskip(SKIP_1) | instid1(VALU_DEP_1)
	v_add_f64 v[58:59], v[98:99], v[58:59]
	v_fma_f64 v[98:99], v[80:81], s[50:51], v[220:221]
	v_add_f64 v[56:57], v[98:99], v[56:57]
	v_fma_f64 v[98:99], v[82:83], s[16:17], v[222:223]
	s_delay_alu instid0(VALU_DEP_1) | instskip(SKIP_1) | instid1(VALU_DEP_1)
	v_add_f64 v[58:59], v[98:99], v[58:59]
	v_fma_f64 v[98:99], v[84:85], s[42:43], v[226:227]
	;; [unrolled: 5-line block ×5, first 2 shown]
	v_add_f64 v[58:59], v[58:59], v[56:57]
	s_delay_alu instid0(VALU_DEP_3) | instskip(SKIP_2) | instid1(VALU_DEP_2)
	v_add_f64 v[56:57], v[102:103], v[98:99]
	v_fma_f64 v[98:99], v[74:75], s[38:39], v[188:189]
	v_fma_f64 v[102:103], v[100:101], s[18:19], v[212:213]
	v_add_f64 v[60:61], v[98:99], v[60:61]
	v_fma_f64 v[98:99], v[76:77], s[20:21], v[190:191]
	s_delay_alu instid0(VALU_DEP_1) | instskip(SKIP_1) | instid1(VALU_DEP_1)
	v_add_f64 v[62:63], v[98:99], v[62:63]
	v_fma_f64 v[98:99], v[78:79], s[24:25], v[192:193]
	v_add_f64 v[60:61], v[98:99], v[60:61]
	v_fma_f64 v[98:99], v[80:81], s[0:1], v[194:195]
	s_delay_alu instid0(VALU_DEP_1) | instskip(SKIP_1) | instid1(VALU_DEP_1)
	v_add_f64 v[62:63], v[98:99], v[62:63]
	;; [unrolled: 5-line block ×5, first 2 shown]
	v_fma_f64 v[98:99], v[94:95], s[30:31], v[208:209]
	v_add_f64 v[60:61], v[98:99], v[60:61]
	v_fma_f64 v[98:99], v[96:97], s[14:15], v[210:211]
	v_dual_mov_b32 v208, v242 :: v_dual_mov_b32 v209, v243
	v_dual_mov_b32 v210, v244 :: v_dual_mov_b32 v211, v245
	s_delay_alu instid0(VALU_DEP_4) | instskip(NEXT) | instid1(VALU_DEP_4)
	v_add_f64 v[60:61], v[102:103], v[60:61]
	v_add_f64 v[62:63], v[98:99], v[62:63]
	v_fma_f64 v[98:99], v[76:77], s[40:41], v[148:149]
	v_fma_f64 v[102:103], v[100:101], s[36:37], v[186:187]
	s_delay_alu instid0(VALU_DEP_2) | instskip(SKIP_1) | instid1(VALU_DEP_1)
	v_add_f64 v[64:65], v[98:99], v[64:65]
	v_fma_f64 v[98:99], v[78:79], s[38:39], v[150:151]
	v_add_f64 v[66:67], v[98:99], v[66:67]
	v_fma_f64 v[98:99], v[80:81], s[20:21], v[154:155]
	s_delay_alu instid0(VALU_DEP_1) | instskip(SKIP_1) | instid1(VALU_DEP_1)
	v_add_f64 v[64:65], v[98:99], v[64:65]
	v_fma_f64 v[98:99], v[82:83], s[24:25], v[156:157]
	v_add_f64 v[66:67], v[98:99], v[66:67]
	v_fma_f64 v[98:99], v[84:85], s[14:15], v[172:173]
	s_delay_alu instid0(VALU_DEP_1) | instskip(SKIP_1) | instid1(VALU_DEP_1)
	;; [unrolled: 5-line block ×4, first 2 shown]
	v_add_f64 v[64:65], v[98:99], v[64:65]
	v_fma_f64 v[98:99], v[94:95], s[22:23], v[182:183]
	v_add_f64 v[98:99], v[98:99], v[66:67]
	v_fma_f64 v[66:67], v[96:97], s[46:47], v[184:185]
	s_delay_alu instid0(VALU_DEP_1) | instskip(NEXT) | instid1(VALU_DEP_3)
	v_add_f64 v[66:67], v[66:67], v[64:65]
	v_add_f64 v[64:65], v[102:103], v[98:99]
	ds_store_b128 v0, v[8:11]
	ds_store_b128 v0, v[28:31] offset:16
	ds_store_b128 v0, v[32:35] offset:32
	;; [unrolled: 1-line block ×16, first 2 shown]
.LBB0_7:
	s_or_b32 exec_lo, exec_lo, s33
	v_and_b32_e32 v0, 0xff, v246
	v_add_nc_u32_e32 v52, 0xcc, v246
	v_add_nc_u16 v1, v246, 0x44
	v_add_nc_u16 v53, v246, 0x88
	s_load_b128 s[4:7], s[4:5], 0x0
	v_mul_lo_u16 v0, 0xf1, v0
	v_and_b32_e32 v3, 0xffff, v52
	v_and_b32_e32 v2, 0xff, v1
	;; [unrolled: 1-line block ×3, first 2 shown]
	s_waitcnt lgkmcnt(0)
	v_lshrrev_b16 v63, 12, v0
	v_mul_u32_u24_e32 v58, 0xf0f1, v3
	v_mul_lo_u16 v0, 0xf1, v2
	v_mul_lo_u16 v2, 0xf1, v62
	s_barrier
	v_mul_lo_u16 v3, v63, 17
	v_lshrrev_b32_e32 v54, 20, v58
	v_lshrrev_b16 v60, 12, v0
	v_lshrrev_b16 v56, 12, v2
	buffer_gl0_inv
	v_sub_nc_u16 v0, v246, v3
	v_mul_lo_u16 v4, v54, 17
	v_mul_lo_u16 v2, v60, 17
	;; [unrolled: 1-line block ×3, first 2 shown]
	v_lshlrev_b32_e32 v242, 4, v246
	v_and_b32_e32 v55, 0xff, v0
	v_sub_nc_u16 v59, v52, v4
	v_sub_nc_u16 v2, v1, v2
	;; [unrolled: 1-line block ×3, first 2 shown]
	s_delay_alu instid0(VALU_DEP_4) | instskip(NEXT) | instid1(VALU_DEP_4)
	v_mad_u64_u32 v[0:1], null, v55, 48, s[2:3]
	v_mul_lo_u16 v6, v59, 48
	s_delay_alu instid0(VALU_DEP_4) | instskip(NEXT) | instid1(VALU_DEP_4)
	v_and_b32_e32 v57, 0xff, v2
	v_and_b32_e32 v61, 0xff, v3
	s_delay_alu instid0(VALU_DEP_2)
	v_mad_u64_u32 v[2:3], null, v57, 48, s[2:3]
	s_clause 0x2
	global_load_b128 v[140:143], v[0:1], off
	global_load_b128 v[136:139], v[0:1], off offset:16
	global_load_b128 v[48:51], v[0:1], off offset:32
	v_and_b32_e32 v0, 0xffff, v6
	v_mad_u64_u32 v[4:5], null, v61, 48, s[2:3]
	s_clause 0x3
	global_load_b128 v[132:135], v[2:3], off
	global_load_b128 v[32:35], v[2:3], off offset:32
	global_load_b128 v[128:131], v[2:3], off offset:16
	global_load_b128 v[40:43], v[4:5], off
	v_add_co_u32 v0, s0, s2, v0
	s_delay_alu instid0(VALU_DEP_1)
	v_add_co_ci_u32_e64 v1, null, s3, 0, s0
	s_clause 0x4
	global_load_b128 v[44:47], v[4:5], off offset:16
	global_load_b128 v[36:39], v[4:5], off offset:32
	global_load_b128 v[152:155], v[0:1], off
	global_load_b128 v[148:151], v[0:1], off offset:16
	global_load_b128 v[144:147], v[0:1], off offset:32
	scratch_load_b32 v212, off, off         ; 4-byte Folded Reload
	s_waitcnt vmcnt(0)
	v_add_lshl_u32 v243, v212, v246, 4
	ds_load_b128 v[64:67], v243 offset:4352
	ds_load_b128 v[68:71], v243 offset:8704
	;; [unrolled: 1-line block ×12, first 2 shown]
	s_clause 0x7
	scratch_store_b128 off, v[140:143], off offset:136
	scratch_store_b128 off, v[144:147], off offset:152
	;; [unrolled: 1-line block ×8, first 2 shown]
	s_waitcnt lgkmcnt(11)
	v_mul_f64 v[0:1], v[66:67], v[142:143]
	s_waitcnt lgkmcnt(10)
	v_mul_f64 v[4:5], v[70:71], v[138:139]
	;; [unrolled: 2-line block ×3, first 2 shown]
	v_mul_f64 v[2:3], v[64:65], v[142:143]
	s_waitcnt lgkmcnt(7)
	v_mul_f64 v[16:17], v[82:83], v[130:131]
	v_mul_f64 v[18:19], v[80:81], v[130:131]
	s_waitcnt lgkmcnt(5)
	v_mul_f64 v[24:25], v[90:91], v[42:43]
	;; [unrolled: 3-line block ×4, first 2 shown]
	v_mul_f64 v[114:115], v[96:97], v[38:39]
	v_mul_f64 v[6:7], v[68:69], v[138:139]
	v_mul_f64 v[10:11], v[72:73], v[50:51]
	v_mul_f64 v[12:13], v[78:79], v[134:135]
	v_mul_f64 v[20:21], v[86:87], v[34:35]
	v_mul_f64 v[14:15], v[76:77], v[134:135]
	v_mul_f64 v[22:23], v[84:85], v[34:35]
	s_waitcnt lgkmcnt(2)
	v_mul_f64 v[116:117], v[102:103], v[154:155]
	v_mul_f64 v[118:119], v[100:101], v[154:155]
	s_waitcnt lgkmcnt(1)
	v_mul_f64 v[120:121], v[106:107], v[150:151]
	v_mul_f64 v[122:123], v[104:105], v[150:151]
	;; [unrolled: 3-line block ×3, first 2 shown]
	s_clause 0x3
	scratch_store_b128 off, v[40:43], off offset:40
	scratch_store_b128 off, v[44:47], off offset:56
	;; [unrolled: 1-line block ×4, first 2 shown]
	v_fma_f64 v[0:1], v[64:65], v[140:141], -v[0:1]
	v_fma_f64 v[4:5], v[68:69], v[136:137], -v[4:5]
	v_fma_f64 v[8:9], v[72:73], v[48:49], -v[8:9]
	v_fma_f64 v[2:3], v[66:67], v[140:141], v[2:3]
	v_fma_f64 v[16:17], v[80:81], v[128:129], -v[16:17]
	v_fma_f64 v[18:19], v[82:83], v[128:129], v[18:19]
	v_fma_f64 v[24:25], v[88:89], v[40:41], -v[24:25]
	;; [unrolled: 2-line block ×4, first 2 shown]
	v_fma_f64 v[82:83], v[98:99], v[36:37], v[114:115]
	v_fma_f64 v[6:7], v[70:71], v[136:137], v[6:7]
	v_fma_f64 v[10:11], v[74:75], v[48:49], v[10:11]
	v_fma_f64 v[12:13], v[76:77], v[132:133], -v[12:13]
	v_fma_f64 v[20:21], v[84:85], v[32:33], -v[20:21]
	v_fma_f64 v[14:15], v[78:79], v[132:133], v[14:15]
	v_fma_f64 v[22:23], v[86:87], v[32:33], v[22:23]
	v_fma_f64 v[84:85], v[100:101], v[152:153], -v[116:117]
	v_fma_f64 v[86:87], v[102:103], v[152:153], v[118:119]
	v_fma_f64 v[88:89], v[104:105], v[148:149], -v[120:121]
	;; [unrolled: 2-line block ×3, first 2 shown]
	v_fma_f64 v[94:95], v[110:111], v[144:145], v[126:127]
	ds_load_b128 v[64:67], v243
	ds_load_b128 v[68:71], v243 offset:1088
	ds_load_b128 v[72:75], v243 offset:2176
	;; [unrolled: 1-line block ×3, first 2 shown]
	s_waitcnt lgkmcnt(0)
	s_waitcnt_vscnt null, 0x0
	s_barrier
	buffer_gl0_inv
	v_add_f64 v[8:9], v[0:1], -v[8:9]
	v_add_f64 v[4:5], v[64:65], -v[4:5]
	;; [unrolled: 1-line block ×16, first 2 shown]
	v_fma_f64 v[0:1], v[0:1], 2.0, -v[8:9]
	v_fma_f64 v[104:105], v[64:65], 2.0, -v[4:5]
	;; [unrolled: 1-line block ×10, first 2 shown]
	v_add_f64 v[64:65], v[4:5], -v[10:11]
	v_fma_f64 v[12:13], v[12:13], 2.0, -v[20:21]
	v_add_f64 v[66:67], v[6:7], v[8:9]
	v_fma_f64 v[14:15], v[14:15], 2.0, -v[22:23]
	v_add_f64 v[68:69], v[16:17], -v[22:23]
	v_add_f64 v[70:71], v[18:19], v[20:21]
	v_fma_f64 v[126:127], v[76:77], 2.0, -v[88:89]
	v_fma_f64 v[128:129], v[78:79], 2.0, -v[124:125]
	;; [unrolled: 1-line block ×4, first 2 shown]
	v_add_f64 v[76:77], v[28:29], -v[80:81]
	v_add_f64 v[78:79], v[30:31], v[96:97]
	v_add_f64 v[90:91], v[88:89], -v[90:91]
	v_add_f64 v[92:93], v[124:125], v[92:93]
	v_add_f64 v[72:73], v[104:105], -v[0:1]
	v_mad_u64_u32 v[0:1], null, v246, 48, s[2:3]
	v_add_f64 v[84:85], v[118:119], -v[24:25]
	v_add_f64 v[86:87], v[120:121], -v[26:27]
	;; [unrolled: 1-line block ×3, first 2 shown]
	v_mul_lo_u16 v2, 0x79, v62
	v_add_f64 v[80:81], v[112:113], -v[12:13]
	v_fma_f64 v[100:101], v[6:7], 2.0, -v[66:67]
	v_add_f64 v[82:83], v[116:117], -v[14:15]
	v_fma_f64 v[102:103], v[16:17], 2.0, -v[68:69]
	v_lshrrev_b16 v2, 13, v2
	v_and_b32_e32 v3, 0xffff, v63
	v_and_b32_e32 v6, 0xffff, v56
	v_add_f64 v[94:95], v[126:127], -v[94:95]
	v_add_f64 v[96:97], v[128:129], -v[98:99]
	v_fma_f64 v[98:99], v[4:5], 2.0, -v[64:65]
	v_fma_f64 v[110:111], v[28:29], 2.0, -v[76:77]
	;; [unrolled: 1-line block ×4, first 2 shown]
	v_lshrrev_b32_e32 v4, 22, v58
	v_and_b32_e32 v5, 0xffff, v60
	v_mul_lo_u16 v2, 0x44, v2
	v_mul_u32_u24_e32 v3, 0x44, v3
	v_mul_u32_u24_e32 v6, 0x44, v6
	v_mul_lo_u16 v4, 0x44, v4
	v_mul_u32_u24_e32 v5, 0x44, v5
	v_sub_nc_u16 v2, v53, v2
	v_add_nc_u32_e32 v3, v3, v55
	s_delay_alu instid0(VALU_DEP_4) | instskip(SKIP_1) | instid1(VALU_DEP_4)
	v_sub_nc_u16 v89, v52, v4
	v_mad_u16 v4, 0x44, v54, v59
	v_and_b32_e32 v88, 0xff, v2
	v_fma_f64 v[106:107], v[104:105], 2.0, -v[72:73]
	v_fma_f64 v[104:105], v[18:19], 2.0, -v[70:71]
	v_add_nc_u32_e32 v2, v5, v57
	v_add_nc_u32_e32 v5, v6, v61
	v_and_b32_e32 v4, 0xffff, v4
	v_mul_lo_u16 v6, v89, 48
	v_add_lshl_u32 v3, v212, v3, 4
	v_fma_f64 v[118:119], v[118:119], 2.0, -v[84:85]
	v_fma_f64 v[120:121], v[120:121], 2.0, -v[86:87]
	v_add_lshl_u32 v2, v212, v2, 4
	v_fma_f64 v[108:109], v[108:109], 2.0, -v[74:75]
	v_add_lshl_u32 v245, v212, v5, 4
	v_fma_f64 v[114:115], v[112:113], 2.0, -v[80:81]
	v_fma_f64 v[112:113], v[30:31], 2.0, -v[78:79]
	;; [unrolled: 1-line block ×3, first 2 shown]
	v_add_lshl_u32 v244, v212, v4, 4
	ds_store_b128 v3, v[72:75] offset:544
	ds_store_b128 v3, v[64:67] offset:816
	ds_store_b128 v3, v[106:109]
	v_fma_f64 v[126:127], v[126:127], 2.0, -v[94:95]
	v_fma_f64 v[128:129], v[128:129], 2.0, -v[96:97]
	scratch_store_b32 off, v3, off offset:428 ; 4-byte Folded Spill
	ds_store_b128 v3, v[98:101] offset:272
	ds_store_b128 v2, v[80:83] offset:544
	;; [unrolled: 1-line block ×3, first 2 shown]
	ds_store_b128 v2, v[114:117]
	scratch_store_b32 off, v2, off offset:392 ; 4-byte Folded Spill
	ds_store_b128 v2, v[102:105] offset:272
	ds_store_b128 v245, v[118:121]
	ds_store_b128 v245, v[110:113] offset:272
	ds_store_b128 v245, v[84:87] offset:544
	;; [unrolled: 1-line block ×5, first 2 shown]
	ds_store_b128 v244, v[126:129]
	ds_store_b128 v244, v[122:125] offset:272
	s_waitcnt lgkmcnt(0)
	s_waitcnt_vscnt null, 0x0
	s_barrier
	buffer_gl0_inv
	s_clause 0x2
	global_load_b128 v[68:71], v[0:1], off offset:816
	global_load_b128 v[64:67], v[0:1], off offset:832
	;; [unrolled: 1-line block ×3, first 2 shown]
	v_and_b32_e32 v0, 0xffff, v6
	v_mad_u64_u32 v[2:3], null, v88, 48, s[2:3]
	s_delay_alu instid0(VALU_DEP_2) | instskip(NEXT) | instid1(VALU_DEP_1)
	v_add_co_u32 v0, s0, s2, v0
	v_add_co_ci_u32_e64 v1, null, s3, 0, s0
	s_clause 0x5
	global_load_b128 v[40:43], v[2:3], off offset:816
	global_load_b128 v[44:47], v[2:3], off offset:832
	;; [unrolled: 1-line block ×6, first 2 shown]
	ds_load_b128 v[90:93], v243 offset:4352
	ds_load_b128 v[94:97], v243 offset:8704
	;; [unrolled: 1-line block ×12, first 2 shown]
	s_waitcnt vmcnt(7) lgkmcnt(10)
	v_mul_f64 v[4:5], v[96:97], v[66:67]
	s_waitcnt vmcnt(6) lgkmcnt(6)
	v_mul_f64 v[20:21], v[112:113], v[34:35]
	v_mul_f64 v[22:23], v[110:111], v[34:35]
	v_mul_f64 v[0:1], v[92:93], v[70:71]
	v_mul_f64 v[2:3], v[90:91], v[70:71]
	v_mul_f64 v[6:7], v[94:95], v[66:67]
	v_mul_f64 v[8:9], v[100:101], v[34:35]
	v_mul_f64 v[10:11], v[98:99], v[34:35]
	s_waitcnt vmcnt(4) lgkmcnt(4)
	v_mul_f64 v[28:29], v[120:121], v[46:47]
	v_mul_f64 v[30:31], v[118:119], v[46:47]
	s_waitcnt vmcnt(2) lgkmcnt(2)
	v_mul_f64 v[142:143], v[128:129], v[58:59]
	v_mul_f64 v[24:25], v[116:117], v[42:43]
	;; [unrolled: 1-line block ×4, first 2 shown]
	s_waitcnt vmcnt(1) lgkmcnt(1)
	v_mul_f64 v[146:147], v[132:133], v[54:55]
	v_mul_f64 v[148:149], v[130:131], v[54:55]
	s_waitcnt vmcnt(0) lgkmcnt(0)
	v_mul_f64 v[150:151], v[136:137], v[50:51]
	v_mul_f64 v[152:153], v[134:135], v[50:51]
	;; [unrolled: 1-line block ×8, first 2 shown]
	s_clause 0x6
	scratch_store_b128 off, v[32:35], off offset:200
	scratch_store_b128 off, v[36:39], off offset:216
	;; [unrolled: 1-line block ×7, first 2 shown]
	v_fma_f64 v[4:5], v[94:95], v[64:65], -v[4:5]
	v_fma_f64 v[20:21], v[110:111], v[32:33], -v[20:21]
	v_fma_f64 v[22:23], v[112:113], v[32:33], v[22:23]
	v_fma_f64 v[0:1], v[90:91], v[68:69], -v[0:1]
	v_fma_f64 v[2:3], v[92:93], v[68:69], v[2:3]
	v_fma_f64 v[6:7], v[96:97], v[64:65], v[6:7]
	v_fma_f64 v[8:9], v[98:99], v[32:33], -v[8:9]
	v_fma_f64 v[10:11], v[100:101], v[32:33], v[10:11]
	v_fma_f64 v[28:29], v[118:119], v[44:45], -v[28:29]
	;; [unrolled: 2-line block ×3, first 2 shown]
	v_fma_f64 v[24:25], v[114:115], v[40:41], -v[24:25]
	v_fma_f64 v[26:27], v[116:117], v[40:41], v[26:27]
	v_fma_f64 v[112:113], v[128:129], v[56:57], v[144:145]
	v_fma_f64 v[114:115], v[130:131], v[52:53], -v[146:147]
	v_fma_f64 v[116:117], v[132:133], v[52:53], v[148:149]
	v_fma_f64 v[118:119], v[134:135], v[48:49], -v[150:151]
	;; [unrolled: 2-line block ×5, first 2 shown]
	v_fma_f64 v[108:109], v[124:125], v[36:37], v[140:141]
	ds_load_b128 v[90:93], v243
	ds_load_b128 v[94:97], v243 offset:1088
	ds_load_b128 v[98:101], v243 offset:2176
	;; [unrolled: 1-line block ×3, first 2 shown]
	s_waitcnt lgkmcnt(0)
	s_waitcnt_vscnt null, 0x0
	s_barrier
	buffer_gl0_inv
	v_add_f64 v[4:5], v[90:91], -v[4:5]
	v_add_f64 v[6:7], v[92:93], -v[6:7]
	;; [unrolled: 1-line block ×16, first 2 shown]
	v_fma_f64 v[136:137], v[90:91], 2.0, -v[4:5]
	v_fma_f64 v[140:141], v[92:93], 2.0, -v[6:7]
	;; [unrolled: 1-line block ×6, first 2 shown]
	v_add_f64 v[90:91], v[4:5], -v[10:11]
	v_add_f64 v[92:93], v[6:7], v[8:9]
	v_fma_f64 v[154:155], v[102:103], 2.0, -v[150:151]
	v_fma_f64 v[156:157], v[104:105], 2.0, -v[152:153]
	v_fma_f64 v[110:111], v[110:111], 2.0, -v[126:127]
	v_fma_f64 v[112:113], v[112:113], 2.0, -v[118:119]
	v_fma_f64 v[12:13], v[12:13], 2.0, -v[20:21]
	v_fma_f64 v[14:15], v[14:15], 2.0, -v[22:23]
	v_fma_f64 v[142:143], v[94:95], 2.0, -v[16:17]
	v_fma_f64 v[144:145], v[96:97], 2.0, -v[18:19]
	v_fma_f64 v[24:25], v[24:25], 2.0, -v[122:123]
	v_fma_f64 v[26:27], v[26:27], 2.0, -v[106:107]
	v_add_f64 v[100:101], v[30:31], v[122:123]
	v_add_f64 v[118:119], v[150:151], -v[118:119]
	v_add_f64 v[120:121], v[152:153], v[126:127]
	v_add_f64 v[98:99], v[28:29], -v[106:107]
	v_add_f64 v[94:95], v[16:17], -v[22:23]
	v_add_f64 v[96:97], v[18:19], v[20:21]
	v_add_f64 v[102:103], v[136:137], -v[0:1]
	v_add_f64 v[104:105], v[140:141], -v[2:3]
	v_and_b32_e32 v2, 0xffff, v89
	v_add_lshl_u32 v3, v212, v88, 4
	v_fma_f64 v[126:127], v[4:5], 2.0, -v[90:91]
	v_fma_f64 v[128:129], v[6:7], 2.0, -v[92:93]
	s_delay_alu instid0(VALU_DEP_4)
	v_add_lshl_u32 v2, v212, v2, 4
	v_add_f64 v[122:123], v[154:155], -v[110:111]
	v_add_f64 v[124:125], v[156:157], -v[112:113]
	v_add_co_u32 v112, s0, s2, v242
	v_add_f64 v[106:107], v[142:143], -v[12:13]
	v_add_f64 v[108:109], v[144:145], -v[14:15]
	;; [unrolled: 1-line block ×4, first 2 shown]
	v_add_co_ci_u32_e64 v113, null, s3, 0, s0
	v_fma_f64 v[150:151], v[150:151], 2.0, -v[118:119]
	v_fma_f64 v[152:153], v[152:153], 2.0, -v[120:121]
	;; [unrolled: 1-line block ×5, first 2 shown]
	v_add_co_u32 v0, s0, 0x1000, v112
	s_delay_alu instid0(VALU_DEP_1)
	v_add_co_ci_u32_e64 v1, s0, 0, v113, s0
	v_fma_f64 v[138:139], v[136:137], 2.0, -v[102:103]
	v_fma_f64 v[140:141], v[140:141], 2.0, -v[104:105]
	;; [unrolled: 1-line block ×9, first 2 shown]
	ds_store_b128 v243, v[102:105] offset:2176
	ds_store_b128 v243, v[90:93] offset:3264
	;; [unrolled: 1-line block ×4, first 2 shown]
	ds_store_b128 v243, v[138:141]
	ds_store_b128 v243, v[126:129] offset:1088
	ds_store_b128 v243, v[142:145] offset:4352
	;; [unrolled: 1-line block ×6, first 2 shown]
	scratch_store_b32 off, v3, off offset:452 ; 4-byte Folded Spill
	ds_store_b128 v3, v[98:101] offset:11968
	ds_store_b128 v2, v[154:157] offset:13056
	ds_store_b128 v2, v[150:153] offset:14144
	ds_store_b128 v2, v[122:125] offset:15232
	scratch_store_b32 off, v2, off offset:448 ; 4-byte Folded Spill
	ds_store_b128 v2, v[118:121] offset:16320
	s_waitcnt lgkmcnt(0)
	s_waitcnt_vscnt null, 0x0
	s_barrier
	buffer_gl0_inv
	s_clause 0x3
	global_load_b128 v[88:91], v242, s[2:3] offset:4080
	global_load_b128 v[92:95], v[0:1], off offset:1072
	global_load_b128 v[96:99], v[0:1], off offset:2160
	;; [unrolled: 1-line block ×3, first 2 shown]
	ds_load_b128 v[104:107], v243 offset:8704
	ds_load_b128 v[108:111], v243 offset:9792
	;; [unrolled: 1-line block ×8, first 2 shown]
	s_waitcnt vmcnt(3) lgkmcnt(7)
	v_mul_f64 v[0:1], v[106:107], v[90:91]
	v_mul_f64 v[2:3], v[104:105], v[90:91]
	s_waitcnt vmcnt(2) lgkmcnt(6)
	v_mul_f64 v[4:5], v[110:111], v[94:95]
	v_mul_f64 v[6:7], v[108:109], v[94:95]
	;; [unrolled: 3-line block ×4, first 2 shown]
	s_waitcnt lgkmcnt(3)
	v_mul_f64 v[16:17], v[124:125], v[90:91]
	v_mul_f64 v[18:19], v[122:123], v[90:91]
	s_waitcnt lgkmcnt(2)
	v_mul_f64 v[20:21], v[128:129], v[94:95]
	v_mul_f64 v[22:23], v[126:127], v[94:95]
	;; [unrolled: 3-line block ×4, first 2 shown]
	v_fma_f64 v[0:1], v[104:105], v[88:89], -v[0:1]
	v_fma_f64 v[2:3], v[106:107], v[88:89], v[2:3]
	v_fma_f64 v[4:5], v[108:109], v[92:93], -v[4:5]
	v_fma_f64 v[6:7], v[110:111], v[92:93], v[6:7]
	;; [unrolled: 2-line block ×8, first 2 shown]
	ds_load_b128 v[104:107], v243
	ds_load_b128 v[108:111], v243 offset:1088
	ds_load_b128 v[114:117], v243 offset:2176
	;; [unrolled: 1-line block ×7, first 2 shown]
	s_waitcnt lgkmcnt(0)
	s_barrier
	buffer_gl0_inv
	v_add_f64 v[138:139], v[104:105], -v[0:1]
	v_add_f64 v[140:141], v[106:107], -v[2:3]
	;; [unrolled: 1-line block ×16, first 2 shown]
	v_add_co_u32 v0, s0, 0x2000, v112
	s_delay_alu instid0(VALU_DEP_1) | instskip(SKIP_1) | instid1(VALU_DEP_1)
	v_add_co_ci_u32_e64 v1, s0, 0, v113, s0
	v_add_co_u32 v2, s0, 0x3000, v112
	v_add_co_ci_u32_e64 v3, s0, 0, v113, s0
	v_fma_f64 v[104:105], v[104:105], 2.0, -v[138:139]
	v_fma_f64 v[106:107], v[106:107], 2.0, -v[140:141]
	;; [unrolled: 1-line block ×16, first 2 shown]
	ds_store_b128 v243, v[138:141] offset:4352
	ds_store_b128 v243, v[142:145] offset:5440
	;; [unrolled: 1-line block ×8, first 2 shown]
	ds_store_b128 v243, v[104:107]
	ds_store_b128 v243, v[108:111] offset:1088
	ds_store_b128 v243, v[114:117] offset:2176
	;; [unrolled: 1-line block ×7, first 2 shown]
	s_waitcnt lgkmcnt(0)
	s_barrier
	buffer_gl0_inv
	s_clause 0x7
	global_load_b128 v[32:35], v[0:1], off offset:240
	global_load_b128 v[36:39], v[0:1], off offset:1328
	;; [unrolled: 1-line block ×8, first 2 shown]
	ds_load_b128 v[136:139], v243 offset:8704
	ds_load_b128 v[140:143], v243 offset:9792
	;; [unrolled: 1-line block ×8, first 2 shown]
	s_waitcnt vmcnt(5) lgkmcnt(5)
	v_mul_f64 v[8:9], v[146:147], v[46:47]
	v_mul_f64 v[10:11], v[144:145], v[46:47]
	s_waitcnt vmcnt(4) lgkmcnt(4)
	v_mul_f64 v[12:13], v[150:151], v[42:43]
	v_mul_f64 v[0:1], v[138:139], v[34:35]
	v_mul_f64 v[2:3], v[136:137], v[34:35]
	v_mul_f64 v[4:5], v[142:143], v[38:39]
	v_mul_f64 v[6:7], v[140:141], v[38:39]
	v_mul_f64 v[14:15], v[148:149], v[42:43]
	s_waitcnt vmcnt(3) lgkmcnt(3)
	v_mul_f64 v[16:17], v[154:155], v[50:51]
	v_mul_f64 v[18:19], v[152:153], v[50:51]
	s_waitcnt vmcnt(2) lgkmcnt(2)
	v_mul_f64 v[20:21], v[158:159], v[54:55]
	v_mul_f64 v[22:23], v[156:157], v[54:55]
	;; [unrolled: 3-line block ×4, first 2 shown]
	s_clause 0x7
	scratch_store_b128 off, v[32:35], off offset:312
	scratch_store_b128 off, v[36:39], off offset:328
	;; [unrolled: 1-line block ×8, first 2 shown]
	v_fma_f64 v[8:9], v[144:145], v[44:45], -v[8:9]
	v_fma_f64 v[10:11], v[146:147], v[44:45], v[10:11]
	v_fma_f64 v[12:13], v[148:149], v[40:41], -v[12:13]
	v_fma_f64 v[0:1], v[136:137], v[32:33], -v[0:1]
	v_fma_f64 v[2:3], v[138:139], v[32:33], v[2:3]
	v_fma_f64 v[4:5], v[140:141], v[36:37], -v[4:5]
	v_fma_f64 v[6:7], v[142:143], v[36:37], v[6:7]
	v_fma_f64 v[14:15], v[150:151], v[40:41], v[14:15]
	v_fma_f64 v[16:17], v[152:153], v[48:49], -v[16:17]
	v_fma_f64 v[18:19], v[154:155], v[48:49], v[18:19]
	v_fma_f64 v[20:21], v[156:157], v[52:53], -v[20:21]
	;; [unrolled: 2-line block ×4, first 2 shown]
	v_fma_f64 v[30:31], v[166:167], v[60:61], v[30:31]
	ds_load_b128 v[136:139], v243
	ds_load_b128 v[148:151], v243 offset:1088
	ds_load_b128 v[160:163], v243 offset:2176
	;; [unrolled: 1-line block ×7, first 2 shown]
	s_waitcnt lgkmcnt(5)
	v_add_f64 v[152:153], v[160:161], -v[8:9]
	v_add_f64 v[154:155], v[162:163], -v[10:11]
	s_waitcnt lgkmcnt(4)
	v_add_f64 v[180:181], v[168:169], -v[12:13]
	v_add_f64 v[140:141], v[136:137], -v[0:1]
	;; [unrolled: 1-line block ×6, first 2 shown]
	s_waitcnt lgkmcnt(3)
	v_add_f64 v[188:189], v[176:177], -v[16:17]
	v_add_f64 v[190:191], v[178:179], -v[18:19]
	s_waitcnt lgkmcnt(2)
	v_add_f64 v[172:173], v[192:193], -v[20:21]
	v_add_f64 v[174:175], v[194:195], -v[22:23]
	;; [unrolled: 3-line block ×4, first 2 shown]
	v_lshlrev_b32_e32 v0, 4, v212
	s_delay_alu instid0(VALU_DEP_1)
	v_lshl_add_u32 v247, v246, 4, v0
	v_add_nc_u32_e32 v32, v242, v0
	v_fma_f64 v[160:161], v[160:161], 2.0, -v[152:153]
	v_fma_f64 v[162:163], v[162:163], 2.0, -v[154:155]
	;; [unrolled: 1-line block ×16, first 2 shown]
	ds_store_b128 v247, v[144:147] offset:9792
	ds_store_b128 v247, v[152:155] offset:10880
	;; [unrolled: 1-line block ×5, first 2 shown]
	ds_store_b128 v247, v[136:139]
	ds_store_b128 v247, v[148:151] offset:1088
	ds_store_b128 v247, v[160:163] offset:2176
	;; [unrolled: 1-line block ×10, first 2 shown]
	s_waitcnt lgkmcnt(0)
	s_waitcnt_vscnt null, 0x0
	s_barrier
	buffer_gl0_inv
	s_and_saveexec_b32 s2, vcc_lo
	s_cbranch_execz .LBB0_9
; %bb.8:
	v_dual_mov_b32 v37, v208 :: v_dual_lshlrev_b32 v22, 4, v246
	s_add_u32 s0, s8, 0x4400
	s_addc_u32 s1, s9, 0
	v_dual_mov_b32 v38, v209 :: v_dual_mov_b32 v39, v210
	s_delay_alu instid0(VALU_DEP_2)
	v_or_b32_e32 v0, 0x1000, v22
	s_clause 0x1
	global_load_b128 v[200:203], v22, s[0:1]
	global_load_b128 v[204:207], v22, s[0:1] offset:1024
	v_dual_mov_b32 v40, v211 :: v_dual_mov_b32 v33, v248
	s_clause 0x2
	global_load_b128 v[208:211], v22, s[0:1] offset:2048
	global_load_b128 v[212:215], v22, s[0:1] offset:3072
	global_load_b128 v[216:219], v0, s[0:1]
	v_or_b32_e32 v0, 0x1400, v22
	v_or_b32_e32 v1, 0x4000, v22
	v_or_b32_e32 v4, 0x2000, v22
	global_load_b128 v[220:223], v0, s[0:1]
	v_or_b32_e32 v0, 0x1800, v22
	global_load_b128 v[226:229], v0, s[0:1]
	scratch_load_b32 v5, off, off offset:4  ; 4-byte Folded Reload
	v_or_b32_e32 v0, 0x1c00, v22
	s_waitcnt vmcnt(0)
	ds_load_b128 v[230:233], v5
	s_clause 0x2
	global_load_b128 v[238:241], v0, s[0:1]
	global_load_b128 v[234:237], v1, s[0:1]
	;; [unrolled: 1-line block ×3, first 2 shown]
	s_waitcnt lgkmcnt(0)
	v_mul_f64 v[0:1], v[232:233], v[202:203]
	v_mul_f64 v[2:3], v[230:231], v[202:203]
	s_delay_alu instid0(VALU_DEP_2) | instskip(NEXT) | instid1(VALU_DEP_2)
	v_fma_f64 v[230:231], v[230:231], v[200:201], -v[0:1]
	v_fma_f64 v[232:233], v[232:233], v[200:201], v[2:3]
	v_or_b32_e32 v0, 0x2400, v22
	global_load_b128 v[200:203], v0, s[0:1]
	v_or_b32_e32 v4, 0x2800, v22
	ds_store_b128 v5, v[230:233]
	ds_load_b128 v[230:233], v247 offset:1024
	ds_load_b128 v[0:3], v247 offset:2048
	global_load_b128 v[4:7], v4, s[0:1]
	s_waitcnt lgkmcnt(1)
	v_mul_f64 v[8:9], v[232:233], v[206:207]
	v_mul_f64 v[10:11], v[230:231], v[206:207]
	s_waitcnt lgkmcnt(0)
	v_mul_f64 v[12:13], v[2:3], v[210:211]
	v_mul_f64 v[14:15], v[0:1], v[210:211]
	s_delay_alu instid0(VALU_DEP_4)
	v_fma_f64 v[230:231], v[230:231], v[204:205], -v[8:9]
	v_or_b32_e32 v8, 0x2c00, v22
	v_fma_f64 v[232:233], v[232:233], v[204:205], v[10:11]
	ds_load_b128 v[204:207], v247 offset:3072
	v_fma_f64 v[0:1], v[0:1], v[208:209], -v[12:13]
	v_fma_f64 v[2:3], v[2:3], v[208:209], v[14:15]
	ds_load_b128 v[208:211], v247 offset:4096
	global_load_b128 v[8:11], v8, s[0:1]
	s_waitcnt lgkmcnt(1)
	v_mul_f64 v[12:13], v[206:207], v[214:215]
	v_mul_f64 v[14:15], v[204:205], v[214:215]
	s_waitcnt lgkmcnt(0)
	v_mul_f64 v[16:17], v[210:211], v[218:219]
	s_delay_alu instid0(VALU_DEP_3) | instskip(SKIP_1) | instid1(VALU_DEP_4)
	v_fma_f64 v[204:205], v[204:205], v[212:213], -v[12:13]
	v_mul_f64 v[12:13], v[208:209], v[218:219]
	v_fma_f64 v[206:207], v[206:207], v[212:213], v[14:15]
	ds_load_b128 v[212:215], v247 offset:5120
	v_fma_f64 v[208:209], v[208:209], v[216:217], -v[16:17]
	v_fma_f64 v[210:211], v[210:211], v[216:217], v[12:13]
	ds_load_b128 v[216:219], v247 offset:6144
	s_waitcnt lgkmcnt(1)
	v_mul_f64 v[12:13], v[214:215], v[222:223]
	v_mul_f64 v[14:15], v[212:213], v[222:223]
	s_waitcnt lgkmcnt(0)
	v_mul_f64 v[16:17], v[218:219], v[228:229]
	s_delay_alu instid0(VALU_DEP_3) | instskip(SKIP_1) | instid1(VALU_DEP_4)
	v_fma_f64 v[212:213], v[212:213], v[220:221], -v[12:13]
	v_mul_f64 v[12:13], v[216:217], v[228:229]
	v_fma_f64 v[214:215], v[214:215], v[220:221], v[14:15]
	ds_load_b128 v[220:223], v247 offset:7168
	v_fma_f64 v[216:217], v[216:217], v[226:227], -v[16:17]
	v_fma_f64 v[218:219], v[218:219], v[226:227], v[12:13]
	ds_load_b128 v[226:229], v247 offset:8192
	s_waitcnt vmcnt(5) lgkmcnt(1)
	v_mul_f64 v[12:13], v[222:223], v[240:241]
	v_mul_f64 v[14:15], v[220:221], v[240:241]
	s_waitcnt vmcnt(3) lgkmcnt(0)
	v_mul_f64 v[16:17], v[228:229], v[250:251]
	s_delay_alu instid0(VALU_DEP_3) | instskip(SKIP_1) | instid1(VALU_DEP_4)
	v_fma_f64 v[220:221], v[220:221], v[238:239], -v[12:13]
	v_mul_f64 v[12:13], v[226:227], v[250:251]
	v_fma_f64 v[222:223], v[222:223], v[238:239], v[14:15]
	ds_load_b128 v[238:241], v247 offset:9216
	v_fma_f64 v[226:227], v[226:227], v[248:249], -v[16:17]
	v_fma_f64 v[228:229], v[228:229], v[248:249], v[12:13]
	ds_load_b128 v[248:251], v247 offset:10240
	s_waitcnt vmcnt(2) lgkmcnt(1)
	v_mul_f64 v[12:13], v[240:241], v[202:203]
	v_mul_f64 v[14:15], v[238:239], v[202:203]
	s_waitcnt vmcnt(1) lgkmcnt(0)
	v_mul_f64 v[16:17], v[250:251], v[6:7]
	v_mul_f64 v[6:7], v[248:249], v[6:7]
	s_delay_alu instid0(VALU_DEP_4) | instskip(NEXT) | instid1(VALU_DEP_4)
	v_fma_f64 v[238:239], v[238:239], v[200:201], -v[12:13]
	v_fma_f64 v[240:241], v[240:241], v[200:201], v[14:15]
	ds_load_b128 v[200:203], v247 offset:11264
	v_or_b32_e32 v14, 0x3000, v22
	v_fma_f64 v[248:249], v[248:249], v[4:5], -v[16:17]
	v_fma_f64 v[250:251], v[250:251], v[4:5], v[6:7]
	ds_load_b128 v[4:7], v247 offset:12288
	s_waitcnt vmcnt(0) lgkmcnt(1)
	v_mul_f64 v[12:13], v[202:203], v[10:11]
	v_mul_f64 v[10:11], v[200:201], v[10:11]
	s_delay_alu instid0(VALU_DEP_2) | instskip(NEXT) | instid1(VALU_DEP_2)
	v_fma_f64 v[200:201], v[200:201], v[8:9], -v[12:13]
	v_fma_f64 v[202:203], v[202:203], v[8:9], v[10:11]
	global_load_b128 v[8:11], v14, s[0:1]
	v_or_b32_e32 v12, 0x3400, v22
	global_load_b128 v[12:15], v12, s[0:1]
	s_waitcnt vmcnt(1) lgkmcnt(0)
	v_mul_f64 v[16:17], v[6:7], v[10:11]
	v_mul_f64 v[10:11], v[4:5], v[10:11]
	s_delay_alu instid0(VALU_DEP_2) | instskip(NEXT) | instid1(VALU_DEP_2)
	v_fma_f64 v[4:5], v[4:5], v[8:9], -v[16:17]
	v_fma_f64 v[6:7], v[6:7], v[8:9], v[10:11]
	ds_load_b128 v[8:11], v247 offset:13312
	ds_load_b128 v[16:19], v247 offset:14336
	s_waitcnt vmcnt(0) lgkmcnt(1)
	v_mul_f64 v[20:21], v[10:11], v[14:15]
	v_mul_f64 v[14:15], v[8:9], v[14:15]
	s_delay_alu instid0(VALU_DEP_2) | instskip(NEXT) | instid1(VALU_DEP_2)
	v_fma_f64 v[8:9], v[8:9], v[12:13], -v[20:21]
	v_fma_f64 v[10:11], v[10:11], v[12:13], v[14:15]
	v_or_b32_e32 v12, 0x3800, v22
	v_or_b32_e32 v20, 0x3c00, v22
	s_clause 0x1
	global_load_b128 v[12:15], v12, s[0:1]
	global_load_b128 v[20:23], v20, s[0:1]
	s_waitcnt vmcnt(1) lgkmcnt(0)
	v_mul_f64 v[24:25], v[18:19], v[14:15]
	v_mul_f64 v[26:27], v[16:17], v[14:15]
	s_delay_alu instid0(VALU_DEP_2) | instskip(NEXT) | instid1(VALU_DEP_2)
	v_fma_f64 v[14:15], v[16:17], v[12:13], -v[24:25]
	v_fma_f64 v[16:17], v[18:19], v[12:13], v[26:27]
	ds_load_b128 v[24:27], v247 offset:15360
	ds_load_b128 v[28:31], v247 offset:16384
	ds_store_b128 v247, v[230:233] offset:1024
	ds_store_b128 v247, v[0:3] offset:2048
	;; [unrolled: 1-line block ×4, first 2 shown]
	v_dual_mov_b32 v211, v40 :: v_dual_mov_b32 v210, v39
	v_dual_mov_b32 v209, v38 :: v_dual_mov_b32 v208, v37
	ds_store_b128 v247, v[212:215] offset:5120
	ds_store_b128 v247, v[216:219] offset:6144
	;; [unrolled: 1-line block ×6, first 2 shown]
	v_mov_b32_e32 v248, v33
	s_waitcnt vmcnt(0) lgkmcnt(11)
	v_mul_f64 v[12:13], v[26:27], v[22:23]
	v_mul_f64 v[22:23], v[24:25], v[22:23]
	s_delay_alu instid0(VALU_DEP_2) | instskip(SKIP_3) | instid1(VALU_DEP_4)
	v_fma_f64 v[18:19], v[24:25], v[20:21], -v[12:13]
	s_waitcnt lgkmcnt(10)
	v_mul_f64 v[12:13], v[30:31], v[236:237]
	v_mul_f64 v[24:25], v[28:29], v[236:237]
	v_fma_f64 v[20:21], v[26:27], v[20:21], v[22:23]
	s_delay_alu instid0(VALU_DEP_3) | instskip(NEXT) | instid1(VALU_DEP_3)
	v_fma_f64 v[22:23], v[28:29], v[234:235], -v[12:13]
	v_fma_f64 v[24:25], v[30:31], v[234:235], v[24:25]
	ds_store_b128 v247, v[200:203] offset:11264
	ds_store_b128 v247, v[4:7] offset:12288
	;; [unrolled: 1-line block ×6, first 2 shown]
.LBB0_9:
	s_or_b32 exec_lo, exec_lo, s2
	s_waitcnt lgkmcnt(0)
	s_barrier
	buffer_gl0_inv
	s_and_saveexec_b32 s0, vcc_lo
	s_cbranch_execz .LBB0_11
; %bb.10:
	scratch_load_b32 v0, off, off offset:4  ; 4-byte Folded Reload
	s_waitcnt vmcnt(0)
	ds_load_b128 v[136:139], v0
	ds_load_b128 v[140:143], v247 offset:1024
	ds_load_b128 v[148:151], v247 offset:2048
	;; [unrolled: 1-line block ×16, first 2 shown]
.LBB0_11:
	s_or_b32 exec_lo, exec_lo, s0
	v_add_nc_u32_e32 v201, 0x1980, v32
	v_add_nc_u32_e32 v200, 0x1dc0, v32
	s_waitcnt lgkmcnt(0)
	s_barrier
	buffer_gl0_inv
	s_and_saveexec_b32 s33, vcc_lo
	s_cbranch_execz .LBB0_13
; %bb.12:
	v_add_f64 v[0:1], v[138:139], v[142:143]
	v_add_f64 v[2:3], v[136:137], v[140:141]
	v_add_f64 v[6:7], v[140:141], -v[208:209]
	s_mov_b32 s24, 0x6c9a05f6
	s_mov_b32 s25, 0xbfe9895b
	v_add_f64 v[8:9], v[142:143], -v[210:211]
	v_add_f64 v[10:11], v[210:211], v[142:143]
	s_mov_b32 s10, 0x6ed5f1bb
	s_mov_b32 s11, 0xbfe348c8
	v_add_f64 v[12:13], v[208:209], v[140:141]
	s_mov_b32 s46, 0x923c349f
	s_mov_b32 s47, 0xbfeec746
	s_clause 0x1
	scratch_store_b32 off, v200, off offset:500
	scratch_store_b32 off, v201, off offset:504
	s_mov_b32 s14, 0xc61f0d01
	s_mov_b32 s15, 0xbfd183b1
	;; [unrolled: 1-line block ×14, first 2 shown]
	v_add_f64 v[202:203], v[196:197], -v[188:189]
	v_add_f64 v[200:201], v[198:199], v[190:191]
	v_add_f64 v[204:205], v[180:181], -v[192:193]
	v_add_f64 v[206:207], v[182:183], -v[194:195]
	s_mov_b32 s34, 0x2a9d6da3
	s_mov_b32 s35, 0x3fe58eea
	s_mov_b32 s49, 0xbfe58eea
	s_mov_b32 s48, s34
	s_mov_b32 s20, 0x75d4884
	s_mov_b32 s21, 0x3fe7a5f6
	s_mov_b32 s30, 0xacd6c6b4
	v_add_f64 v[0:1], v[150:151], v[0:1]
	v_add_f64 v[2:3], v[148:149], v[2:3]
	v_mul_f64 v[16:17], v[6:7], s[24:25]
	v_mul_f64 v[18:19], v[6:7], s[46:47]
	v_mul_f64 v[20:21], v[6:7], s[42:43]
	v_mul_f64 v[214:215], v[8:9], s[42:43]
	v_mul_f64 v[22:23], v[6:7], s[36:37]
	v_mul_f64 v[216:217], v[8:9], s[36:37]
	v_mul_f64 v[24:25], v[6:7], s[48:49]
	v_mul_f64 v[218:219], v[8:9], s[48:49]
	s_mov_b32 s38, 0x4363dd80
	s_mov_b32 s40, 0x5d8e7cdc
	;; [unrolled: 1-line block ×7, first 2 shown]
	v_mul_f64 v[14:15], v[6:7], s[38:39]
	s_mov_b32 s2, 0x910ea3b9
	s_mov_b32 s0, 0x7faef3
	;; [unrolled: 1-line block ×6, first 2 shown]
	v_mov_b32_e32 v251, v245
	s_mov_b32 s51, 0x3fe9895b
	s_mov_b32 s50, s24
	v_mul_f64 v[32:33], v[202:203], s[26:27]
	s_mov_b32 s53, 0x3feec746
	s_mov_b32 s52, s46
	v_mul_f64 v[40:41], v[206:207], s[30:31]
	v_mul_f64 v[42:43], v[202:203], s[44:45]
	;; [unrolled: 1-line block ×8, first 2 shown]
	v_add_f64 v[0:1], v[146:147], v[0:1]
	v_add_f64 v[2:3], v[144:145], v[2:3]
	v_fma_f64 v[30:31], v[10:11], s[10:11], v[16:17]
	v_fma_f64 v[16:17], v[10:11], s[10:11], -v[16:17]
	v_fma_f64 v[140:141], v[10:11], s[14:15], v[18:19]
	v_fma_f64 v[142:143], v[10:11], s[16:17], v[20:21]
	v_fma_f64 v[230:231], v[12:13], s[16:17], -v[214:215]
	v_fma_f64 v[232:233], v[12:13], s[18:19], v[216:217]
	v_fma_f64 v[216:217], v[12:13], s[18:19], -v[216:217]
	;; [unrolled: 2-line block ×3, first 2 shown]
	v_fma_f64 v[18:19], v[10:11], s[14:15], -v[18:19]
	v_fma_f64 v[20:21], v[10:11], s[16:17], -v[20:21]
	v_fma_f64 v[214:215], v[12:13], s[16:17], v[214:215]
	v_mul_f64 v[54:55], v[202:203], s[38:39]
	v_mul_f64 v[78:79], v[206:207], s[50:51]
	;; [unrolled: 1-line block ×3, first 2 shown]
	v_fma_f64 v[28:29], v[10:11], s[2:3], v[14:15]
	v_fma_f64 v[14:15], v[10:11], s[2:3], -v[14:15]
	scratch_store_b32 off, v244, off offset:684 ; 4-byte Folded Spill
	v_mul_f64 v[244:245], v[204:205], s[46:47]
	v_fma_f64 v[34:35], v[200:201], s[16:17], v[32:33]
	v_add_f64 v[0:1], v[162:163], v[0:1]
	v_add_f64 v[2:3], v[160:161], v[2:3]
	;; [unrolled: 1-line block ×10, first 2 shown]
	s_delay_alu instid0(VALU_DEP_2) | instskip(NEXT) | instid1(VALU_DEP_2)
	v_add_f64 v[0:1], v[186:187], v[0:1]
	v_add_f64 v[2:3], v[184:185], v[2:3]
	s_delay_alu instid0(VALU_DEP_2) | instskip(NEXT) | instid1(VALU_DEP_2)
	v_add_f64 v[0:1], v[182:183], v[0:1]
	v_add_f64 v[2:3], v[180:181], v[2:3]
	;; [unrolled: 1-line block ×3, first 2 shown]
	s_delay_alu instid0(VALU_DEP_3) | instskip(NEXT) | instid1(VALU_DEP_3)
	v_add_f64 v[0:1], v[198:199], v[0:1]
	v_add_f64 v[2:3], v[196:197], v[2:3]
	;; [unrolled: 1-line block ×3, first 2 shown]
	v_add_f64 v[198:199], v[198:199], -v[190:191]
	s_delay_alu instid0(VALU_DEP_4) | instskip(NEXT) | instid1(VALU_DEP_4)
	v_add_f64 v[0:1], v[190:191], v[0:1]
	v_add_f64 v[2:3], v[188:189], v[2:3]
	;; [unrolled: 1-line block ×5, first 2 shown]
	v_mul_f64 v[44:45], v[198:199], s[44:45]
	v_mul_f64 v[46:47], v[198:199], s[30:31]
	;; [unrolled: 1-line block ×4, first 2 shown]
	v_add_f64 v[0:1], v[194:195], v[0:1]
	v_add_f64 v[2:3], v[192:193], v[2:3]
	v_add_f64 v[192:193], v[184:185], -v[172:173]
	v_add_f64 v[184:185], v[186:187], -v[174:175]
	v_add_f64 v[186:187], v[152:153], -v[176:177]
	v_add_f64 v[152:153], v[176:177], v[152:153]
	v_add_f64 v[194:195], v[154:155], -v[178:179]
	v_add_f64 v[0:1], v[174:175], v[0:1]
	v_add_f64 v[2:3], v[172:173], v[2:3]
	;; [unrolled: 1-line block ×5, first 2 shown]
	v_mul_f64 v[224:225], v[184:185], s[44:45]
	v_mul_f64 v[112:113], v[192:193], s[52:53]
	;; [unrolled: 1-line block ×8, first 2 shown]
	v_add_f64 v[0:1], v[178:179], v[0:1]
	v_add_f64 v[2:3], v[176:177], v[2:3]
	v_add_f64 v[176:177], v[160:161], -v[164:165]
	v_add_f64 v[160:161], v[144:145], v[168:169]
	v_add_f64 v[178:179], v[162:163], -v[166:167]
	v_add_f64 v[162:163], v[146:147], v[170:171]
	v_add_f64 v[0:1], v[166:167], v[0:1]
	v_add_f64 v[2:3], v[164:165], v[2:3]
	v_add_f64 v[164:165], v[144:145], -v[168:169]
	v_fma_f64 v[144:145], v[10:11], s[18:19], -v[22:23]
	v_fma_f64 v[22:23], v[10:11], s[18:19], v[22:23]
	v_add_f64 v[166:167], v[146:147], -v[170:171]
	v_fma_f64 v[146:147], v[10:11], s[20:21], -v[24:25]
	v_fma_f64 v[24:25], v[10:11], s[20:21], v[24:25]
	v_mul_f64 v[104:105], v[176:177], s[30:31]
	v_mul_f64 v[106:107], v[178:179], s[30:31]
	;; [unrolled: 1-line block ×5, first 2 shown]
	v_add_f64 v[0:1], v[170:171], v[0:1]
	v_add_f64 v[2:3], v[168:169], v[2:3]
	v_add_f64 v[170:171], v[148:149], -v[156:157]
	v_add_f64 v[168:169], v[150:151], -v[158:159]
	v_add_f64 v[150:151], v[158:159], v[150:151]
	v_add_f64 v[148:149], v[156:157], v[148:149]
	v_mul_f64 v[238:239], v[166:167], s[36:37]
	v_mul_f64 v[58:59], v[166:167], s[52:53]
	v_add_f64 v[0:1], v[158:159], v[0:1]
	v_add_f64 v[4:5], v[156:157], v[2:3]
	v_mul_f64 v[158:159], v[8:9], s[38:39]
	v_mul_f64 v[249:250], v[168:169], s[48:49]
	;; [unrolled: 1-line block ×5, first 2 shown]
	v_add_f64 v[2:3], v[210:211], v[0:1]
	v_add_f64 v[0:1], v[208:209], v[4:5]
	v_mul_f64 v[208:209], v[8:9], s[24:25]
	v_mul_f64 v[210:211], v[8:9], s[46:47]
	;; [unrolled: 1-line block ×4, first 2 shown]
	v_fma_f64 v[222:223], v[12:13], s[2:3], -v[158:159]
	v_fma_f64 v[158:159], v[12:13], s[2:3], v[158:159]
	scratch_store_b128 off, v[0:3], off offset:508 ; 16-byte Folded Spill
	v_fma_f64 v[226:227], v[12:13], s[10:11], -v[208:209]
	v_fma_f64 v[208:209], v[12:13], s[10:11], v[208:209]
	v_add_f64 v[0:1], v[138:139], v[16:17]
	v_fma_f64 v[228:229], v[12:13], s[14:15], -v[210:211]
	v_fma_f64 v[26:27], v[10:11], s[0:1], v[4:5]
	v_fma_f64 v[4:5], v[10:11], s[0:1], -v[4:5]
	v_fma_f64 v[156:157], v[10:11], s[22:23], -v[6:7]
	v_fma_f64 v[6:7], v[10:11], s[22:23], v[6:7]
	v_mul_f64 v[10:11], v[8:9], s[30:31]
	v_mul_f64 v[8:9], v[8:9], s[28:29]
	v_fma_f64 v[210:211], v[12:13], s[14:15], v[210:211]
	v_add_f64 v[16:17], v[138:139], v[146:147]
	v_mul_f64 v[146:147], v[194:195], s[24:25]
	v_add_f64 v[226:227], v[136:137], v[226:227]
	scratch_store_b64 off, v[0:1], off offset:676 ; 8-byte Folded Spill
	v_add_f64 v[0:1], v[136:137], v[208:209]
	v_mul_f64 v[208:209], v[178:179], s[42:43]
	v_add_f64 v[4:5], v[138:139], v[4:5]
	v_add_f64 v[18:19], v[138:139], v[156:157]
	v_mul_f64 v[156:157], v[186:187], s[46:47]
	v_fma_f64 v[220:221], v[12:13], s[0:1], -v[10:11]
	v_fma_f64 v[236:237], v[12:13], s[22:23], v[8:9]
	v_fma_f64 v[8:9], v[12:13], s[22:23], -v[8:9]
	v_fma_f64 v[10:11], v[12:13], s[0:1], v[10:11]
	v_add_f64 v[12:13], v[138:139], v[26:27]
	v_add_f64 v[82:83], v[136:137], v[210:211]
	scratch_store_b64 off, v[0:1], off offset:668 ; 8-byte Folded Spill
	v_add_f64 v[0:1], v[138:139], v[140:141]
	v_mul_f64 v[140:141], v[176:177], s[34:35]
	v_add_f64 v[26:27], v[136:137], v[220:221]
	v_add_f64 v[220:221], v[136:137], v[222:223]
	;; [unrolled: 1-line block ×5, first 2 shown]
	v_mul_f64 v[158:159], v[178:179], s[40:41]
	scratch_store_b64 off, v[0:1], off offset:660 ; 8-byte Folded Spill
	v_add_f64 v[0:1], v[136:137], v[228:229]
	v_add_f64 v[228:229], v[138:139], v[20:21]
	;; [unrolled: 1-line block ×3, first 2 shown]
	v_mul_f64 v[144:145], v[186:187], s[24:25]
	scratch_store_b64 off, v[0:1], off offset:652 ; 8-byte Folded Spill
	v_add_f64 v[0:1], v[138:139], v[142:143]
	v_mul_f64 v[142:143], v[178:179], s[34:35]
	scratch_store_b64 off, v[0:1], off offset:628 ; 8-byte Folded Spill
	v_add_f64 v[0:1], v[136:137], v[230:231]
	v_add_f64 v[230:231], v[136:137], v[214:215]
	v_mul_f64 v[214:215], v[204:205], s[50:51]
	scratch_store_b64 off, v[0:1], off offset:620 ; 8-byte Folded Spill
	v_add_f64 v[0:1], v[138:139], v[22:23]
	scratch_store_b64 off, v[0:1], off offset:612 ; 8-byte Folded Spill
	v_add_f64 v[0:1], v[136:137], v[216:217]
	v_mul_f64 v[216:217], v[192:193], s[38:39]
	scratch_store_b64 off, v[0:1], off offset:604 ; 8-byte Folded Spill
	v_add_f64 v[0:1], v[138:139], v[24:25]
	v_mul_f64 v[24:25], v[164:165], s[38:39]
	;; [unrolled: 3-line block ×4, first 2 shown]
	v_mul_f64 v[138:139], v[192:193], s[28:29]
	scratch_store_b64 off, v[0:1], off offset:564 ; 8-byte Folded Spill
	v_add_f64 v[0:1], v[136:137], v[8:9]
	v_fma_f64 v[8:9], v[150:151], s[22:23], v[6:7]
	v_fma_f64 v[6:7], v[150:151], s[22:23], -v[6:7]
	scratch_store_b64 off, v[0:1], off offset:556 ; 8-byte Folded Spill
	v_add_f64 v[8:9], v[8:9], v[12:13]
	v_mul_f64 v[12:13], v[168:169], s[40:41]
	v_add_f64 v[4:5], v[6:7], v[4:5]
	v_mul_f64 v[0:1], v[206:207], s[46:47]
	s_delay_alu instid0(VALU_DEP_3) | instskip(SKIP_1) | instid1(VALU_DEP_2)
	v_fma_f64 v[22:23], v[148:149], s[22:23], -v[12:13]
	v_fma_f64 v[6:7], v[148:149], s[22:23], v[12:13]
	v_add_f64 v[22:23], v[22:23], v[26:27]
	v_fma_f64 v[26:27], v[162:163], s[2:3], v[24:25]
	s_delay_alu instid0(VALU_DEP_3) | instskip(SKIP_1) | instid1(VALU_DEP_3)
	v_add_f64 v[6:7], v[6:7], v[10:11]
	v_fma_f64 v[10:11], v[162:163], s[2:3], -v[24:25]
	v_add_f64 v[8:9], v[26:27], v[8:9]
	v_mul_f64 v[26:27], v[166:167], s[38:39]
	s_delay_alu instid0(VALU_DEP_3) | instskip(NEXT) | instid1(VALU_DEP_2)
	v_add_f64 v[4:5], v[10:11], v[4:5]
	v_fma_f64 v[136:137], v[160:161], s[2:3], -v[26:27]
	v_fma_f64 v[10:11], v[160:161], s[2:3], v[26:27]
	s_delay_alu instid0(VALU_DEP_2) | instskip(SKIP_1) | instid1(VALU_DEP_3)
	v_add_f64 v[22:23], v[136:137], v[22:23]
	v_fma_f64 v[136:137], v[174:175], s[20:21], v[140:141]
	v_add_f64 v[6:7], v[10:11], v[6:7]
	v_fma_f64 v[10:11], v[174:175], s[20:21], -v[140:141]
	v_mul_f64 v[140:141], v[192:193], s[24:25]
	s_delay_alu instid0(VALU_DEP_4) | instskip(SKIP_1) | instid1(VALU_DEP_4)
	v_add_f64 v[8:9], v[136:137], v[8:9]
	v_fma_f64 v[136:137], v[154:155], s[20:21], -v[142:143]
	v_add_f64 v[4:5], v[10:11], v[4:5]
	v_fma_f64 v[10:11], v[154:155], s[20:21], v[142:143]
	v_mul_f64 v[142:143], v[206:207], s[42:43]
	s_delay_alu instid0(VALU_DEP_4) | instskip(SKIP_1) | instid1(VALU_DEP_4)
	v_add_f64 v[22:23], v[136:137], v[22:23]
	v_fma_f64 v[136:137], v[172:173], s[10:11], v[144:145]
	v_add_f64 v[6:7], v[10:11], v[6:7]
	v_fma_f64 v[10:11], v[172:173], s[10:11], -v[144:145]
	s_delay_alu instid0(VALU_DEP_3) | instskip(SKIP_1) | instid1(VALU_DEP_3)
	v_add_f64 v[8:9], v[136:137], v[8:9]
	v_fma_f64 v[136:137], v[152:153], s[10:11], -v[146:147]
	v_add_f64 v[4:5], v[10:11], v[4:5]
	v_fma_f64 v[10:11], v[152:153], s[10:11], v[146:147]
	v_mul_f64 v[146:147], v[198:199], s[38:39]
	s_delay_alu instid0(VALU_DEP_4) | instskip(SKIP_1) | instid1(VALU_DEP_4)
	v_add_f64 v[22:23], v[136:137], v[22:23]
	v_fma_f64 v[136:137], v[190:191], s[18:19], v[218:219]
	v_add_f64 v[6:7], v[10:11], v[6:7]
	v_fma_f64 v[10:11], v[190:191], s[18:19], -v[218:219]
	v_mul_f64 v[218:219], v[204:205], s[34:35]
	s_delay_alu instid0(VALU_DEP_4) | instskip(SKIP_1) | instid1(VALU_DEP_4)
	v_add_f64 v[8:9], v[136:137], v[8:9]
	v_fma_f64 v[136:137], v[182:183], s[18:19], -v[224:225]
	v_add_f64 v[4:5], v[10:11], v[4:5]
	v_fma_f64 v[10:11], v[182:183], s[18:19], v[224:225]
	v_mul_f64 v[224:225], v[202:203], s[46:47]
	v_mul_f64 v[202:203], v[202:203], s[24:25]
	v_add_f64 v[22:23], v[136:137], v[22:23]
	v_fma_f64 v[136:137], v[188:189], s[14:15], v[244:245]
	v_add_f64 v[6:7], v[10:11], v[6:7]
	v_fma_f64 v[10:11], v[188:189], s[14:15], -v[244:245]
	v_mul_f64 v[244:245], v[192:193], s[48:49]
	s_delay_alu instid0(VALU_DEP_4)
	v_add_f64 v[8:9], v[136:137], v[8:9]
	v_fma_f64 v[136:137], v[180:181], s[14:15], -v[0:1]
	v_fma_f64 v[0:1], v[180:181], s[14:15], v[0:1]
	v_add_f64 v[4:5], v[10:11], v[4:5]
	v_mul_f64 v[10:11], v[164:165], s[42:43]
	v_add_f64 v[36:37], v[34:35], v[8:9]
	v_mul_f64 v[8:9], v[198:199], s[26:27]
	v_add_f64 v[22:23], v[136:137], v[22:23]
	v_add_f64 v[0:1], v[0:1], v[6:7]
	v_fma_f64 v[6:7], v[200:201], s[16:17], -v[32:33]
	v_fma_f64 v[12:13], v[162:163], s[16:17], v[10:11]
	v_mul_f64 v[136:137], v[184:185], s[24:25]
	v_fma_f64 v[34:35], v[196:197], s[16:17], -v[8:9]
	v_fma_f64 v[8:9], v[196:197], s[16:17], v[8:9]
	v_add_f64 v[2:3], v[6:7], v[4:5]
	v_mul_f64 v[6:7], v[168:169], s[44:45]
	s_delay_alu instid0(VALU_DEP_4) | instskip(NEXT) | instid1(VALU_DEP_4)
	v_add_f64 v[34:35], v[34:35], v[22:23]
	v_add_f64 v[0:1], v[8:9], v[0:1]
	s_delay_alu instid0(VALU_DEP_3)
	v_fma_f64 v[8:9], v[148:149], s[18:19], -v[6:7]
	v_fma_f64 v[6:7], v[148:149], s[18:19], v[6:7]
	s_clause 0x1
	scratch_store_b128 off, v[34:37], off offset:524
	scratch_store_b128 off, v[0:3], off offset:540
	v_mul_f64 v[0:1], v[170:171], s[44:45]
	s_mov_b32 s45, 0x3fc7851a
	v_add_f64 v[8:9], v[8:9], v[220:221]
	v_mul_f64 v[220:221], v[206:207], s[34:35]
	v_add_f64 v[6:7], v[6:7], v[222:223]
	v_mul_f64 v[222:223], v[178:179], s[38:39]
	s_mov_b32 s44, s30
	s_delay_alu instid0(SALU_CYCLE_1) | instskip(SKIP_2) | instid1(VALU_DEP_2)
	v_mul_f64 v[128:129], v[166:167], s[44:45]
	v_fma_f64 v[4:5], v[150:151], s[18:19], v[0:1]
	v_fma_f64 v[0:1], v[150:151], s[18:19], -v[0:1]
	v_add_f64 v[4:5], v[4:5], v[28:29]
	s_delay_alu instid0(VALU_DEP_2) | instskip(SKIP_1) | instid1(VALU_DEP_3)
	v_add_f64 v[0:1], v[0:1], v[14:15]
	v_fma_f64 v[14:15], v[148:149], s[20:21], v[249:250]
	v_add_f64 v[4:5], v[12:13], v[4:5]
	v_mul_f64 v[12:13], v[166:167], s[42:43]
	s_delay_alu instid0(VALU_DEP_3) | instskip(SKIP_1) | instid1(VALU_DEP_3)
	v_add_f64 v[14:15], v[14:15], v[236:237]
	v_mul_f64 v[236:237], v[176:177], s[42:43]
	v_fma_f64 v[22:23], v[160:161], s[16:17], -v[12:13]
	s_delay_alu instid0(VALU_DEP_1) | instskip(SKIP_1) | instid1(VALU_DEP_1)
	v_add_f64 v[8:9], v[22:23], v[8:9]
	v_mul_f64 v[22:23], v[176:177], s[50:51]
	v_fma_f64 v[24:25], v[174:175], s[10:11], v[22:23]
	s_delay_alu instid0(VALU_DEP_1) | instskip(SKIP_1) | instid1(VALU_DEP_1)
	v_add_f64 v[4:5], v[24:25], v[4:5]
	v_mul_f64 v[24:25], v[178:179], s[50:51]
	v_fma_f64 v[26:27], v[154:155], s[10:11], -v[24:25]
	s_delay_alu instid0(VALU_DEP_1) | instskip(SKIP_1) | instid1(VALU_DEP_1)
	v_add_f64 v[8:9], v[26:27], v[8:9]
	v_mul_f64 v[26:27], v[186:187], s[28:29]
	v_fma_f64 v[28:29], v[172:173], s[22:23], v[26:27]
	s_delay_alu instid0(VALU_DEP_1) | instskip(SKIP_1) | instid1(VALU_DEP_1)
	v_add_f64 v[4:5], v[28:29], v[4:5]
	v_mul_f64 v[28:29], v[194:195], s[28:29]
	v_fma_f64 v[32:33], v[152:153], s[22:23], -v[28:29]
	s_delay_alu instid0(VALU_DEP_1) | instskip(SKIP_2) | instid1(VALU_DEP_2)
	v_add_f64 v[8:9], v[32:33], v[8:9]
	v_mul_f64 v[32:33], v[192:193], s[30:31]
	v_mul_f64 v[192:193], v[192:193], s[26:27]
	v_fma_f64 v[34:35], v[190:191], s[0:1], v[32:33]
	s_delay_alu instid0(VALU_DEP_1) | instskip(SKIP_1) | instid1(VALU_DEP_1)
	v_add_f64 v[4:5], v[34:35], v[4:5]
	v_mul_f64 v[34:35], v[184:185], s[30:31]
	v_fma_f64 v[144:145], v[182:183], s[0:1], -v[34:35]
	s_delay_alu instid0(VALU_DEP_1) | instskip(SKIP_1) | instid1(VALU_DEP_1)
	v_add_f64 v[8:9], v[144:145], v[8:9]
	v_fma_f64 v[144:145], v[188:189], s[20:21], v[218:219]
	v_add_f64 v[4:5], v[144:145], v[4:5]
	v_fma_f64 v[144:145], v[180:181], s[20:21], -v[220:221]
	s_delay_alu instid0(VALU_DEP_1) | instskip(SKIP_1) | instid1(VALU_DEP_1)
	v_add_f64 v[8:9], v[144:145], v[8:9]
	v_fma_f64 v[144:145], v[200:201], s[14:15], v[224:225]
	v_add_f64 v[38:39], v[144:145], v[4:5]
	v_mul_f64 v[4:5], v[198:199], s[46:47]
	v_mul_f64 v[198:199], v[198:199], s[24:25]
	s_delay_alu instid0(VALU_DEP_2) | instskip(SKIP_1) | instid1(VALU_DEP_2)
	v_fma_f64 v[144:145], v[196:197], s[14:15], -v[4:5]
	v_fma_f64 v[4:5], v[196:197], s[14:15], v[4:5]
	v_add_f64 v[36:37], v[144:145], v[8:9]
	v_fma_f64 v[8:9], v[162:163], s[16:17], -v[10:11]
	v_mul_f64 v[144:145], v[194:195], s[46:47]
	s_mov_b32 s47, 0x3fe0d888
	s_mov_b32 s46, s38
	s_delay_alu instid0(SALU_CYCLE_1) | instskip(SKIP_1) | instid1(VALU_DEP_4)
	v_mul_f64 v[108:109], v[186:187], s[46:47]
	v_mul_f64 v[110:111], v[194:195], s[46:47]
	v_add_f64 v[0:1], v[8:9], v[0:1]
	v_fma_f64 v[8:9], v[160:161], s[16:17], v[12:13]
	s_delay_alu instid0(VALU_DEP_1) | instskip(SKIP_1) | instid1(VALU_DEP_1)
	v_add_f64 v[6:7], v[8:9], v[6:7]
	v_fma_f64 v[8:9], v[174:175], s[10:11], -v[22:23]
	v_add_f64 v[0:1], v[8:9], v[0:1]
	v_fma_f64 v[8:9], v[154:155], s[10:11], v[24:25]
	s_delay_alu instid0(VALU_DEP_1) | instskip(SKIP_1) | instid1(VALU_DEP_1)
	v_add_f64 v[6:7], v[8:9], v[6:7]
	v_fma_f64 v[8:9], v[172:173], s[22:23], -v[26:27]
	v_add_f64 v[0:1], v[8:9], v[0:1]
	v_fma_f64 v[8:9], v[152:153], s[22:23], v[28:29]
	s_delay_alu instid0(VALU_DEP_1) | instskip(SKIP_2) | instid1(VALU_DEP_2)
	v_add_f64 v[6:7], v[8:9], v[6:7]
	v_fma_f64 v[8:9], v[190:191], s[0:1], -v[32:33]
	v_mul_f64 v[32:33], v[168:169], s[52:53]
	v_add_f64 v[0:1], v[8:9], v[0:1]
	v_fma_f64 v[8:9], v[182:183], s[0:1], v[34:35]
	v_mul_f64 v[34:35], v[164:165], s[28:29]
	s_delay_alu instid0(VALU_DEP_4) | instskip(SKIP_1) | instid1(VALU_DEP_4)
	v_fma_f64 v[10:11], v[148:149], s[14:15], -v[32:33]
	v_fma_f64 v[32:33], v[148:149], s[14:15], v[32:33]
	v_add_f64 v[6:7], v[8:9], v[6:7]
	v_fma_f64 v[8:9], v[188:189], s[20:21], -v[218:219]
	v_fma_f64 v[12:13], v[162:163], s[22:23], v[34:35]
	v_mul_f64 v[218:219], v[166:167], s[28:29]
	v_add_f64 v[10:11], v[10:11], v[226:227]
	v_mul_f64 v[226:227], v[194:195], s[26:27]
	v_fma_f64 v[34:35], v[162:163], s[22:23], -v[34:35]
	v_add_f64 v[0:1], v[8:9], v[0:1]
	v_fma_f64 v[8:9], v[180:181], s[20:21], v[220:221]
	v_mul_f64 v[220:221], v[176:177], s[38:39]
	s_delay_alu instid0(VALU_DEP_2) | instskip(SKIP_2) | instid1(VALU_DEP_2)
	v_add_f64 v[8:9], v[8:9], v[6:7]
	v_fma_f64 v[6:7], v[200:201], s[14:15], -v[224:225]
	v_mul_f64 v[224:225], v[186:187], s[26:27]
	v_add_f64 v[2:3], v[6:7], v[0:1]
	s_delay_alu instid0(VALU_DEP_4)
	v_add_f64 v[0:1], v[4:5], v[8:9]
	scratch_store_b128 off, v[36:39], off offset:588 ; 16-byte Folded Spill
	v_mul_f64 v[36:37], v[184:185], s[48:49]
	v_mul_f64 v[38:39], v[204:205], s[30:31]
	;; [unrolled: 1-line block ×5, first 2 shown]
	scratch_store_b128 off, v[0:3], off offset:636 ; 16-byte Folded Spill
	v_mul_f64 v[2:3], v[170:171], s[52:53]
	v_mul_f64 v[0:1], v[170:171], s[48:49]
	v_fma_f64 v[22:23], v[162:163], s[10:11], -v[4:5]
	v_fma_f64 v[4:5], v[162:163], s[10:11], v[4:5]
	s_delay_alu instid0(VALU_DEP_4)
	v_fma_f64 v[8:9], v[150:151], s[14:15], v[2:3]
	s_clause 0x2
	scratch_store_b64 off, v[0:1], off offset:688
	scratch_store_b32 off, v254, off offset:492
	scratch_store_b32 off, v255, off offset:496
	v_mul_f64 v[254:255], v[164:165], s[36:37]
	v_fma_f64 v[2:3], v[150:151], s[14:15], -v[2:3]
	v_add_f64 v[8:9], v[8:9], v[30:31]
	s_delay_alu instid0(VALU_DEP_1) | instskip(SKIP_1) | instid1(VALU_DEP_1)
	v_add_f64 v[8:9], v[12:13], v[8:9]
	v_fma_f64 v[12:13], v[160:161], s[22:23], -v[218:219]
	v_add_f64 v[10:11], v[12:13], v[10:11]
	v_fma_f64 v[12:13], v[174:175], s[2:3], v[220:221]
	s_delay_alu instid0(VALU_DEP_1) | instskip(SKIP_1) | instid1(VALU_DEP_1)
	v_add_f64 v[8:9], v[12:13], v[8:9]
	v_fma_f64 v[12:13], v[154:155], s[2:3], -v[222:223]
	v_add_f64 v[10:11], v[12:13], v[10:11]
	v_fma_f64 v[12:13], v[172:173], s[16:17], v[224:225]
	;; [unrolled: 5-line block ×5, first 2 shown]
	s_delay_alu instid0(VALU_DEP_1) | instskip(SKIP_3) | instid1(VALU_DEP_3)
	v_add_f64 v[212:213], v[10:11], v[8:9]
	v_fma_f64 v[8:9], v[196:197], s[18:19], -v[44:45]
	v_dual_mov_b32 v10, v252 :: v_dual_mov_b32 v11, v253
	v_mul_f64 v[252:253], v[204:205], s[42:43]
	v_add_f64 v[210:211], v[8:9], v[12:13]
	v_fma_f64 v[12:13], v[150:151], s[20:21], -v[0:1]
	v_mul_f64 v[8:9], v[170:171], s[42:43]
	v_mul_f64 v[0:1], v[194:195], s[34:35]
	;; [unrolled: 1-line block ×3, first 2 shown]
	s_delay_alu instid0(VALU_DEP_4) | instskip(SKIP_1) | instid1(VALU_DEP_1)
	v_add_f64 v[12:13], v[12:13], v[18:19]
	v_fma_f64 v[18:19], v[162:163], s[18:19], -v[254:255]
	v_add_f64 v[12:13], v[18:19], v[12:13]
	v_fma_f64 v[18:19], v[160:161], s[18:19], v[238:239]
	s_delay_alu instid0(VALU_DEP_1) | instskip(SKIP_1) | instid1(VALU_DEP_1)
	v_add_f64 v[14:15], v[18:19], v[14:15]
	v_fma_f64 v[18:19], v[174:175], s[16:17], -v[236:237]
	v_add_f64 v[12:13], v[18:19], v[12:13]
	v_fma_f64 v[18:19], v[154:155], s[16:17], v[208:209]
	s_delay_alu instid0(VALU_DEP_1) | instskip(SKIP_1) | instid1(VALU_DEP_1)
	;; [unrolled: 5-line block ×6, first 2 shown]
	v_add_f64 v[12:13], v[12:13], v[18:19]
	v_fma_f64 v[18:19], v[150:151], s[16:17], -v[8:9]
	v_add_f64 v[16:17], v[18:19], v[16:17]
	v_fma_f64 v[18:19], v[148:149], s[16:17], v[6:7]
	s_delay_alu instid0(VALU_DEP_2) | instskip(NEXT) | instid1(VALU_DEP_2)
	v_add_f64 v[16:17], v[22:23], v[16:17]
	v_add_f64 v[18:19], v[18:19], v[234:235]
	v_mul_f64 v[234:235], v[166:167], s[24:25]
	s_delay_alu instid0(VALU_DEP_1) | instskip(NEXT) | instid1(VALU_DEP_1)
	v_fma_f64 v[22:23], v[160:161], s[10:11], v[234:235]
	v_add_f64 v[18:19], v[22:23], v[18:19]
	v_fma_f64 v[22:23], v[174:175], s[0:1], -v[104:105]
	s_delay_alu instid0(VALU_DEP_1) | instskip(SKIP_1) | instid1(VALU_DEP_1)
	v_add_f64 v[16:17], v[22:23], v[16:17]
	v_fma_f64 v[22:23], v[154:155], s[0:1], v[106:107]
	v_add_f64 v[18:19], v[22:23], v[18:19]
	v_fma_f64 v[22:23], v[172:173], s[2:3], -v[108:109]
	s_delay_alu instid0(VALU_DEP_1) | instskip(SKIP_1) | instid1(VALU_DEP_1)
	v_add_f64 v[16:17], v[22:23], v[16:17]
	;; [unrolled: 5-line block ×6, first 2 shown]
	v_fma_f64 v[22:23], v[148:149], s[10:11], v[126:127]
	v_add_f64 v[22:23], v[22:23], v[232:233]
	v_mul_f64 v[232:233], v[164:165], s[44:45]
	s_delay_alu instid0(VALU_DEP_1) | instskip(NEXT) | instid1(VALU_DEP_1)
	v_fma_f64 v[24:25], v[162:163], s[0:1], -v[232:233]
	v_add_f64 v[20:21], v[24:25], v[20:21]
	v_fma_f64 v[24:25], v[160:161], s[0:1], v[128:129]
	s_delay_alu instid0(VALU_DEP_1) | instskip(SKIP_1) | instid1(VALU_DEP_1)
	v_add_f64 v[22:23], v[24:25], v[22:23]
	v_fma_f64 v[24:25], v[174:175], s[14:15], -v[130:131]
	v_add_f64 v[20:21], v[24:25], v[20:21]
	v_fma_f64 v[24:25], v[154:155], s[14:15], v[132:133]
	s_delay_alu instid0(VALU_DEP_1) | instskip(SKIP_1) | instid1(VALU_DEP_1)
	v_add_f64 v[22:23], v[24:25], v[22:23]
	v_fma_f64 v[24:25], v[172:173], s[20:21], -v[134:135]
	v_add_f64 v[20:21], v[24:25], v[20:21]
	v_fma_f64 v[24:25], v[152:153], s[20:21], v[0:1]
	v_fma_f64 v[0:1], v[152:153], s[20:21], -v[0:1]
	s_delay_alu instid0(VALU_DEP_2) | instskip(SKIP_1) | instid1(VALU_DEP_1)
	v_add_f64 v[22:23], v[24:25], v[22:23]
	v_fma_f64 v[24:25], v[190:191], s[22:23], -v[138:139]
	v_add_f64 v[20:21], v[24:25], v[20:21]
	v_fma_f64 v[24:25], v[182:183], s[22:23], v[52:53]
	s_delay_alu instid0(VALU_DEP_1) | instskip(SKIP_1) | instid1(VALU_DEP_1)
	v_add_f64 v[22:23], v[24:25], v[22:23]
	v_fma_f64 v[24:25], v[188:189], s[16:17], -v[252:253]
	v_add_f64 v[20:21], v[24:25], v[20:21]
	v_fma_f64 v[24:25], v[180:181], s[16:17], v[142:143]
	s_delay_alu instid0(VALU_DEP_1) | instskip(SKIP_1) | instid1(VALU_DEP_1)
	;; [unrolled: 5-line block ×3, first 2 shown]
	v_add_f64 v[20:21], v[20:21], v[24:25]
	v_fma_f64 v[24:25], v[150:151], s[0:1], -v[56:57]
	v_add_f64 v[24:25], v[24:25], v[228:229]
	v_mul_f64 v[228:229], v[168:169], s[30:31]
	v_mul_f64 v[168:169], v[168:169], s[46:47]
	s_delay_alu instid0(VALU_DEP_2) | instskip(NEXT) | instid1(VALU_DEP_2)
	v_fma_f64 v[26:27], v[148:149], s[0:1], v[228:229]
	v_fma_f64 v[30:31], v[148:149], s[2:3], v[168:169]
	s_delay_alu instid0(VALU_DEP_2) | instskip(SKIP_1) | instid1(VALU_DEP_3)
	v_add_f64 v[26:27], v[26:27], v[230:231]
	v_mul_f64 v[230:231], v[164:165], s[52:53]
	v_add_f64 v[30:31], v[30:31], v[82:83]
	v_mul_f64 v[82:83], v[164:165], s[34:35]
	s_delay_alu instid0(VALU_DEP_3) | instskip(NEXT) | instid1(VALU_DEP_2)
	v_fma_f64 v[28:29], v[162:163], s[14:15], -v[230:231]
	v_fma_f64 v[164:165], v[162:163], s[20:21], -v[82:83]
	s_delay_alu instid0(VALU_DEP_2) | instskip(SKIP_1) | instid1(VALU_DEP_1)
	v_add_f64 v[24:25], v[28:29], v[24:25]
	v_fma_f64 v[28:29], v[160:161], s[14:15], v[58:59]
	v_add_f64 v[26:27], v[28:29], v[26:27]
	v_fma_f64 v[28:29], v[174:175], s[22:23], -v[60:61]
	s_delay_alu instid0(VALU_DEP_1) | instskip(SKIP_1) | instid1(VALU_DEP_1)
	v_add_f64 v[24:25], v[28:29], v[24:25]
	v_fma_f64 v[28:29], v[154:155], s[22:23], v[158:159]
	v_add_f64 v[26:27], v[28:29], v[26:27]
	v_fma_f64 v[28:29], v[172:173], s[18:19], -v[72:73]
	s_delay_alu instid0(VALU_DEP_1) | instskip(SKIP_1) | instid1(VALU_DEP_1)
	v_add_f64 v[24:25], v[28:29], v[24:25]
	v_fma_f64 v[28:29], v[152:153], s[18:19], v[74:75]
	v_add_f64 v[26:27], v[28:29], v[26:27]
	v_fma_f64 v[28:29], v[190:191], s[2:3], -v[216:217]
	s_delay_alu instid0(VALU_DEP_1) | instskip(SKIP_1) | instid1(VALU_DEP_1)
	v_add_f64 v[24:25], v[28:29], v[24:25]
	v_fma_f64 v[28:29], v[182:183], s[2:3], v[76:77]
	v_add_f64 v[26:27], v[28:29], v[26:27]
	v_fma_f64 v[28:29], v[188:189], s[10:11], -v[214:215]
	s_delay_alu instid0(VALU_DEP_1) | instskip(SKIP_1) | instid1(VALU_DEP_1)
	v_add_f64 v[24:25], v[28:29], v[24:25]
	v_fma_f64 v[28:29], v[180:181], s[10:11], v[78:79]
	v_add_f64 v[28:29], v[28:29], v[26:27]
	v_fma_f64 v[26:27], v[200:201], s[20:21], -v[240:241]
	s_delay_alu instid0(VALU_DEP_1) | instskip(SKIP_1) | instid1(VALU_DEP_1)
	v_add_f64 v[26:27], v[26:27], v[24:25]
	v_fma_f64 v[24:25], v[196:197], s[20:21], v[80:81]
	v_add_f64 v[24:25], v[24:25], v[28:29]
	v_fma_f64 v[28:29], v[150:151], s[2:3], -v[170:171]
	s_delay_alu instid0(VALU_DEP_1) | instskip(SKIP_1) | instid1(VALU_DEP_2)
	v_add_f64 v[28:29], v[28:29], v[84:85]
	v_mul_f64 v[84:85], v[166:167], s[34:35]
	v_add_f64 v[28:29], v[164:165], v[28:29]
	s_delay_alu instid0(VALU_DEP_2) | instskip(NEXT) | instid1(VALU_DEP_1)
	v_fma_f64 v[86:87], v[160:161], s[20:21], v[84:85]
	v_add_f64 v[30:31], v[86:87], v[30:31]
	v_mul_f64 v[86:87], v[176:177], s[36:37]
	v_mul_f64 v[176:177], v[178:179], s[36:37]
	;; [unrolled: 1-line block ×6, first 2 shown]
	v_fma_f64 v[164:165], v[174:175], s[18:19], -v[86:87]
	s_delay_alu instid0(VALU_DEP_1) | instskip(SKIP_1) | instid1(VALU_DEP_1)
	v_add_f64 v[28:29], v[164:165], v[28:29]
	v_fma_f64 v[164:165], v[154:155], s[18:19], v[176:177]
	v_add_f64 v[30:31], v[164:165], v[30:31]
	v_fma_f64 v[164:165], v[172:173], s[0:1], -v[178:179]
	s_delay_alu instid0(VALU_DEP_1) | instskip(SKIP_1) | instid1(VALU_DEP_1)
	v_add_f64 v[28:29], v[164:165], v[28:29]
	v_fma_f64 v[164:165], v[152:153], s[0:1], v[186:187]
	v_add_f64 v[30:31], v[164:165], v[30:31]
	;; [unrolled: 5-line block ×5, first 2 shown]
	scratch_load_b64 v[164:165], off, off offset:676 ; 8-byte Folded Reload
	s_waitcnt vmcnt(0)
	v_add_f64 v[2:3], v[2:3], v[164:165]
	scratch_load_b64 v[164:165], off, off offset:668 ; 8-byte Folded Reload
	v_add_f64 v[2:3], v[34:35], v[2:3]
	v_fma_f64 v[34:35], v[160:161], s[22:23], v[218:219]
	s_waitcnt vmcnt(0)
	v_add_f64 v[32:33], v[32:33], v[164:165]
	s_delay_alu instid0(VALU_DEP_1) | instskip(SKIP_1) | instid1(VALU_DEP_1)
	v_add_f64 v[32:33], v[34:35], v[32:33]
	v_fma_f64 v[34:35], v[174:175], s[2:3], -v[220:221]
	v_add_f64 v[2:3], v[34:35], v[2:3]
	v_fma_f64 v[34:35], v[154:155], s[2:3], v[222:223]
	s_delay_alu instid0(VALU_DEP_1) | instskip(SKIP_3) | instid1(VALU_DEP_3)
	v_add_f64 v[32:33], v[34:35], v[32:33]
	v_fma_f64 v[34:35], v[172:173], s[16:17], -v[224:225]
	v_or_b32_e32 v225, 0x2c0, v246
	v_or_b32_e32 v224, 0x280, v246
	v_add_f64 v[2:3], v[34:35], v[2:3]
	v_fma_f64 v[34:35], v[152:153], s[16:17], v[226:227]
	s_delay_alu instid0(VALU_DEP_1)
	v_add_f64 v[32:33], v[34:35], v[32:33]
	v_fma_f64 v[34:35], v[190:191], s[20:21], -v[244:245]
	scratch_load_b32 v244, off, off offset:684 ; 4-byte Folded Reload
	v_add_f64 v[2:3], v[34:35], v[2:3]
	v_fma_f64 v[34:35], v[182:183], s[20:21], v[36:37]
	v_fma_f64 v[36:37], v[196:197], s[18:19], v[44:45]
	s_delay_alu instid0(VALU_DEP_2) | instskip(SKIP_1) | instid1(VALU_DEP_1)
	v_add_f64 v[32:33], v[34:35], v[32:33]
	v_fma_f64 v[34:35], v[188:189], s[0:1], -v[38:39]
	v_add_f64 v[2:3], v[34:35], v[2:3]
	v_fma_f64 v[34:35], v[180:181], s[0:1], v[40:41]
	s_delay_alu instid0(VALU_DEP_1) | instskip(SKIP_1) | instid1(VALU_DEP_2)
	v_add_f64 v[32:33], v[34:35], v[32:33]
	v_fma_f64 v[34:35], v[200:201], s[18:19], -v[42:43]
	v_add_f64 v[164:165], v[36:37], v[32:33]
	scratch_load_b64 v[32:33], off, off offset:660 ; 8-byte Folded Reload
	v_add_f64 v[166:167], v[34:35], v[2:3]
	scratch_load_b64 v[34:35], off, off offset:652 ; 8-byte Folded Reload
	v_fma_f64 v[2:3], v[150:151], s[2:3], v[170:171]
	v_fma_f64 v[36:37], v[196:197], s[10:11], -v[198:199]
	s_waitcnt vmcnt(1)
	s_delay_alu instid0(VALU_DEP_2) | instskip(SKIP_2) | instid1(VALU_DEP_1)
	v_add_f64 v[2:3], v[2:3], v[32:33]
	v_fma_f64 v[32:33], v[148:149], s[2:3], -v[168:169]
	s_waitcnt vmcnt(0)
	v_add_f64 v[32:33], v[32:33], v[34:35]
	v_fma_f64 v[34:35], v[162:163], s[20:21], v[82:83]
	s_delay_alu instid0(VALU_DEP_1) | instskip(SKIP_1) | instid1(VALU_DEP_1)
	v_add_f64 v[2:3], v[34:35], v[2:3]
	v_fma_f64 v[34:35], v[160:161], s[20:21], -v[84:85]
	v_add_f64 v[32:33], v[34:35], v[32:33]
	v_fma_f64 v[34:35], v[174:175], s[18:19], v[86:87]
	s_delay_alu instid0(VALU_DEP_1) | instskip(SKIP_1) | instid1(VALU_DEP_1)
	v_add_f64 v[2:3], v[34:35], v[2:3]
	v_fma_f64 v[34:35], v[154:155], s[18:19], -v[176:177]
	v_add_f64 v[32:33], v[34:35], v[32:33]
	v_fma_f64 v[34:35], v[172:173], s[0:1], v[178:179]
	s_delay_alu instid0(VALU_DEP_1) | instskip(SKIP_1) | instid1(VALU_DEP_1)
	v_add_f64 v[2:3], v[34:35], v[2:3]
	v_fma_f64 v[34:35], v[152:153], s[0:1], -v[186:187]
	v_add_f64 v[32:33], v[34:35], v[32:33]
	v_fma_f64 v[34:35], v[190:191], s[16:17], v[192:193]
	s_delay_alu instid0(VALU_DEP_1) | instskip(SKIP_1) | instid1(VALU_DEP_1)
	v_add_f64 v[2:3], v[34:35], v[2:3]
	v_fma_f64 v[34:35], v[182:183], s[16:17], -v[184:185]
	v_add_f64 v[32:33], v[34:35], v[32:33]
	v_fma_f64 v[34:35], v[188:189], s[22:23], v[194:195]
	s_delay_alu instid0(VALU_DEP_1) | instskip(SKIP_1) | instid1(VALU_DEP_1)
	v_add_f64 v[2:3], v[34:35], v[2:3]
	v_fma_f64 v[34:35], v[180:181], s[22:23], -v[204:205]
	v_add_f64 v[32:33], v[34:35], v[32:33]
	v_fma_f64 v[34:35], v[200:201], s[10:11], v[202:203]
	s_delay_alu instid0(VALU_DEP_2)
	v_add_f64 v[168:169], v[36:37], v[32:33]
	scratch_load_b64 v[32:33], off, off offset:628 ; 8-byte Folded Reload
	v_add_f64 v[170:171], v[34:35], v[2:3]
	scratch_load_b64 v[34:35], off, off offset:620 ; 8-byte Folded Reload
	v_fma_f64 v[2:3], v[150:151], s[0:1], v[56:57]
	v_fma_f64 v[36:37], v[196:197], s[20:21], -v[80:81]
	s_waitcnt vmcnt(1)
	s_delay_alu instid0(VALU_DEP_2) | instskip(SKIP_1) | instid1(VALU_DEP_1)
	v_add_f64 v[2:3], v[2:3], v[32:33]
	v_fma_f64 v[32:33], v[162:163], s[14:15], v[230:231]
	v_add_f64 v[2:3], v[32:33], v[2:3]
	v_fma_f64 v[32:33], v[174:175], s[22:23], v[60:61]
	s_delay_alu instid0(VALU_DEP_1) | instskip(SKIP_1) | instid1(VALU_DEP_1)
	v_add_f64 v[2:3], v[32:33], v[2:3]
	v_fma_f64 v[32:33], v[172:173], s[18:19], v[72:73]
	v_add_f64 v[2:3], v[32:33], v[2:3]
	v_fma_f64 v[32:33], v[190:191], s[2:3], v[216:217]
	s_delay_alu instid0(VALU_DEP_1) | instskip(SKIP_2) | instid1(VALU_DEP_1)
	v_add_f64 v[2:3], v[32:33], v[2:3]
	v_fma_f64 v[32:33], v[148:149], s[0:1], -v[228:229]
	s_waitcnt vmcnt(0)
	v_add_f64 v[32:33], v[32:33], v[34:35]
	v_fma_f64 v[34:35], v[160:161], s[14:15], -v[58:59]
	s_delay_alu instid0(VALU_DEP_1) | instskip(SKIP_1) | instid1(VALU_DEP_1)
	v_add_f64 v[32:33], v[34:35], v[32:33]
	v_fma_f64 v[34:35], v[154:155], s[22:23], -v[158:159]
	v_add_f64 v[32:33], v[34:35], v[32:33]
	v_fma_f64 v[34:35], v[152:153], s[18:19], -v[74:75]
	s_delay_alu instid0(VALU_DEP_1) | instskip(SKIP_1) | instid1(VALU_DEP_1)
	v_add_f64 v[32:33], v[34:35], v[32:33]
	v_fma_f64 v[34:35], v[182:183], s[2:3], -v[76:77]
	v_add_f64 v[32:33], v[34:35], v[32:33]
	v_fma_f64 v[34:35], v[188:189], s[10:11], v[214:215]
	s_delay_alu instid0(VALU_DEP_1) | instskip(SKIP_1) | instid1(VALU_DEP_1)
	v_add_f64 v[2:3], v[34:35], v[2:3]
	v_fma_f64 v[34:35], v[180:181], s[10:11], -v[78:79]
	v_add_f64 v[32:33], v[34:35], v[32:33]
	v_fma_f64 v[34:35], v[200:201], s[20:21], v[240:241]
	s_delay_alu instid0(VALU_DEP_2)
	v_add_f64 v[176:177], v[36:37], v[32:33]
	scratch_load_b64 v[32:33], off, off offset:612 ; 8-byte Folded Reload
	v_add_f64 v[178:179], v[34:35], v[2:3]
	scratch_load_b64 v[34:35], off, off offset:604 ; 8-byte Folded Reload
	v_fma_f64 v[2:3], v[150:151], s[10:11], v[124:125]
	s_waitcnt vmcnt(1)
	s_delay_alu instid0(VALU_DEP_1) | instskip(SKIP_2) | instid1(VALU_DEP_1)
	v_add_f64 v[2:3], v[2:3], v[32:33]
	v_fma_f64 v[32:33], v[148:149], s[10:11], -v[126:127]
	s_waitcnt vmcnt(0)
	v_add_f64 v[32:33], v[32:33], v[34:35]
	v_fma_f64 v[34:35], v[162:163], s[0:1], v[232:233]
	s_delay_alu instid0(VALU_DEP_1) | instskip(SKIP_1) | instid1(VALU_DEP_1)
	v_add_f64 v[2:3], v[34:35], v[2:3]
	v_fma_f64 v[34:35], v[160:161], s[0:1], -v[128:129]
	v_add_f64 v[32:33], v[34:35], v[32:33]
	v_fma_f64 v[34:35], v[174:175], s[14:15], v[130:131]
	s_delay_alu instid0(VALU_DEP_1) | instskip(SKIP_1) | instid1(VALU_DEP_1)
	v_add_f64 v[2:3], v[34:35], v[2:3]
	v_fma_f64 v[34:35], v[154:155], s[14:15], -v[132:133]
	v_add_f64 v[32:33], v[34:35], v[32:33]
	v_fma_f64 v[34:35], v[172:173], s[20:21], v[134:135]
	s_delay_alu instid0(VALU_DEP_2) | instskip(NEXT) | instid1(VALU_DEP_2)
	v_add_f64 v[0:1], v[0:1], v[32:33]
	v_add_f64 v[2:3], v[34:35], v[2:3]
	v_fma_f64 v[32:33], v[190:191], s[22:23], v[138:139]
	v_fma_f64 v[34:35], v[196:197], s[2:3], -v[146:147]
	s_delay_alu instid0(VALU_DEP_2) | instskip(SKIP_1) | instid1(VALU_DEP_1)
	v_add_f64 v[2:3], v[32:33], v[2:3]
	v_fma_f64 v[32:33], v[182:183], s[22:23], -v[52:53]
	v_add_f64 v[0:1], v[32:33], v[0:1]
	v_fma_f64 v[32:33], v[188:189], s[16:17], v[252:253]
	v_dual_mov_b32 v252, v10 :: v_dual_mov_b32 v253, v11
	s_delay_alu instid0(VALU_DEP_2) | instskip(SKIP_1) | instid1(VALU_DEP_1)
	v_add_f64 v[2:3], v[32:33], v[2:3]
	v_fma_f64 v[32:33], v[180:181], s[16:17], -v[142:143]
	v_add_f64 v[0:1], v[32:33], v[0:1]
	v_fma_f64 v[32:33], v[200:201], s[2:3], v[54:55]
	s_delay_alu instid0(VALU_DEP_2) | instskip(NEXT) | instid1(VALU_DEP_2)
	v_add_f64 v[184:185], v[34:35], v[0:1]
	v_add_f64 v[186:187], v[32:33], v[2:3]
	scratch_load_b64 v[2:3], off, off offset:580 ; 8-byte Folded Reload
	v_fma_f64 v[0:1], v[150:151], s[16:17], v[8:9]
	s_waitcnt vmcnt(0)
	s_delay_alu instid0(VALU_DEP_1)
	v_add_f64 v[0:1], v[0:1], v[2:3]
	v_fma_f64 v[2:3], v[148:149], s[16:17], -v[6:7]
	scratch_load_b64 v[6:7], off, off offset:572 ; 8-byte Folded Reload
	v_add_f64 v[0:1], v[4:5], v[0:1]
	v_fma_f64 v[4:5], v[160:161], s[10:11], -v[234:235]
	s_waitcnt vmcnt(0)
	v_add_f64 v[2:3], v[2:3], v[6:7]
	v_fma_f64 v[6:7], v[196:197], s[22:23], -v[122:123]
	s_delay_alu instid0(VALU_DEP_2) | instskip(SKIP_1) | instid1(VALU_DEP_1)
	v_add_f64 v[2:3], v[4:5], v[2:3]
	v_fma_f64 v[4:5], v[174:175], s[0:1], v[104:105]
	v_add_f64 v[0:1], v[4:5], v[0:1]
	v_fma_f64 v[4:5], v[154:155], s[0:1], -v[106:107]
	s_delay_alu instid0(VALU_DEP_1) | instskip(SKIP_1) | instid1(VALU_DEP_1)
	v_add_f64 v[2:3], v[4:5], v[2:3]
	v_fma_f64 v[4:5], v[172:173], s[2:3], v[108:109]
	v_add_f64 v[0:1], v[4:5], v[0:1]
	v_fma_f64 v[4:5], v[152:153], s[2:3], -v[110:111]
	s_delay_alu instid0(VALU_DEP_1) | instskip(SKIP_1) | instid1(VALU_DEP_1)
	v_add_f64 v[2:3], v[4:5], v[2:3]
	v_fma_f64 v[4:5], v[190:191], s[14:15], v[112:113]
	v_add_f64 v[0:1], v[4:5], v[0:1]
	v_fma_f64 v[4:5], v[182:183], s[14:15], -v[114:115]
	s_delay_alu instid0(VALU_DEP_1) | instskip(SKIP_1) | instid1(VALU_DEP_1)
	v_add_f64 v[2:3], v[4:5], v[2:3]
	v_fma_f64 v[4:5], v[188:189], s[18:19], v[116:117]
	v_add_f64 v[0:1], v[4:5], v[0:1]
	v_fma_f64 v[4:5], v[180:181], s[18:19], -v[118:119]
	s_delay_alu instid0(VALU_DEP_1) | instskip(SKIP_1) | instid1(VALU_DEP_2)
	v_add_f64 v[2:3], v[4:5], v[2:3]
	v_fma_f64 v[4:5], v[200:201], s[22:23], v[120:121]
	v_add_f64 v[192:193], v[6:7], v[2:3]
	s_delay_alu instid0(VALU_DEP_2)
	v_add_f64 v[194:195], v[4:5], v[0:1]
	scratch_load_b64 v[0:1], off, off offset:688 ; 8-byte Folded Reload
	v_fma_f64 v[4:5], v[162:163], s[18:19], v[254:255]
	s_clause 0x3
	scratch_load_b32 v255, off, off offset:496
	scratch_load_b32 v254, off, off offset:492
	scratch_load_b64 v[6:7], off, off offset:564
	scratch_load_b64 v[8:9], off, off offset:556
	v_fma_f64 v[2:3], v[148:149], s[20:21], -v[249:250]
	s_waitcnt vmcnt(4)
	v_fma_f64 v[0:1], v[150:151], s[20:21], v[0:1]
	s_waitcnt vmcnt(0)
	s_delay_alu instid0(VALU_DEP_2) | instskip(SKIP_1) | instid1(VALU_DEP_3)
	v_add_f64 v[2:3], v[2:3], v[8:9]
	v_fma_f64 v[8:9], v[174:175], s[16:17], v[236:237]
	v_add_f64 v[0:1], v[0:1], v[6:7]
	v_fma_f64 v[6:7], v[160:161], s[18:19], -v[238:239]
	s_delay_alu instid0(VALU_DEP_2) | instskip(SKIP_1) | instid1(VALU_DEP_3)
	v_add_f64 v[0:1], v[4:5], v[0:1]
	v_fma_f64 v[4:5], v[154:155], s[16:17], -v[208:209]
	v_add_f64 v[2:3], v[6:7], v[2:3]
	v_fma_f64 v[6:7], v[172:173], s[14:15], v[156:157]
	s_delay_alu instid0(VALU_DEP_4) | instskip(SKIP_1) | instid1(VALU_DEP_4)
	v_add_f64 v[0:1], v[8:9], v[0:1]
	v_fma_f64 v[8:9], v[152:153], s[14:15], -v[144:145]
	v_add_f64 v[2:3], v[4:5], v[2:3]
	v_fma_f64 v[4:5], v[190:191], s[10:11], v[140:141]
	s_delay_alu instid0(VALU_DEP_4) | instskip(SKIP_1) | instid1(VALU_DEP_4)
	;; [unrolled: 5-line block ×3, first 2 shown]
	v_add_f64 v[0:1], v[4:5], v[0:1]
	v_fma_f64 v[4:5], v[180:181], s[2:3], -v[50:51]
	v_add_f64 v[2:3], v[6:7], v[2:3]
	v_fma_f64 v[6:7], v[200:201], s[0:1], v[48:49]
	s_clause 0x1
	scratch_load_b32 v201, off, off offset:504
	scratch_load_b32 v200, off, off offset:500
	v_add_f64 v[0:1], v[8:9], v[0:1]
	v_fma_f64 v[8:9], v[196:197], s[0:1], -v[46:47]
	v_add_f64 v[2:3], v[4:5], v[2:3]
	s_delay_alu instid0(VALU_DEP_3) | instskip(SKIP_4) | instid1(VALU_DEP_3)
	v_add_f64 v[150:151], v[6:7], v[0:1]
	scratch_load_b32 v1, off, off offset:488 ; 4-byte Folded Reload
	v_mul_lo_u16 v0, v246, 17
	v_mov_b32_e32 v245, v251
	v_add_f64 v[148:149], v[8:9], v[2:3]
	v_and_b32_e32 v0, 0xffff, v0
	s_waitcnt vmcnt(0)
	s_delay_alu instid0(VALU_DEP_1)
	v_lshl_add_u32 v0, v0, 4, v1
	scratch_load_b128 v[1:4], off, off offset:508 ; 16-byte Folded Reload
	s_waitcnt vmcnt(0)
	ds_store_b128 v0, v[1:4]
	ds_store_b128 v0, v[12:15] offset:16
	ds_store_b128 v0, v[16:19] offset:32
	;; [unrolled: 1-line block ×6, first 2 shown]
	scratch_load_b128 v[1:4], off, off offset:636 ; 16-byte Folded Reload
	s_waitcnt vmcnt(0)
	ds_store_b128 v0, v[1:4] offset:112
	scratch_load_b128 v[1:4], off, off offset:540 ; 16-byte Folded Reload
	s_waitcnt vmcnt(0)
	ds_store_b128 v0, v[1:4] offset:128
	;; [unrolled: 3-line block ×4, first 2 shown]
	ds_store_b128 v0, v[210:213] offset:176
	ds_store_b128 v0, v[168:171] offset:192
	;; [unrolled: 1-line block ×6, first 2 shown]
.LBB0_13:
	s_or_b32 exec_lo, exec_lo, s33
	s_waitcnt lgkmcnt(0)
	s_waitcnt_vscnt null, 0x0
	s_barrier
	buffer_gl0_inv
	ds_load_b128 v[0:3], v243 offset:4352
	ds_load_b128 v[4:7], v243 offset:8704
	ds_load_b128 v[8:11], v243 offset:13056
	ds_load_b128 v[12:15], v243 offset:5440
	ds_load_b128 v[16:19], v243 offset:9792
	ds_load_b128 v[20:23], v243 offset:14144
	ds_load_b128 v[24:27], v243 offset:6528
	ds_load_b128 v[28:31], v243 offset:10880
	ds_load_b128 v[136:139], v243 offset:15232
	ds_load_b128 v[140:143], v243 offset:7616
	ds_load_b128 v[144:147], v243 offset:11968
	ds_load_b128 v[148:151], v243 offset:16320
	s_clause 0x7
	scratch_load_b128 v[130:133], off, off offset:136
	scratch_load_b128 v[152:155], off, off offset:168
	;; [unrolled: 1-line block ×8, first 2 shown]
	s_waitcnt vmcnt(7) lgkmcnt(11)
	v_mul_f64 v[32:33], v[132:133], v[2:3]
	v_mul_f64 v[34:35], v[132:133], v[0:1]
	scratch_load_b128 v[132:135], off, off offset:152 ; 16-byte Folded Reload
	s_waitcnt vmcnt(6) lgkmcnt(9)
	v_mul_f64 v[40:41], v[118:119], v[10:11]
	v_mul_f64 v[42:43], v[118:119], v[8:9]
	scratch_load_b128 v[118:121], off, off offset:88 ; 16-byte Folded Reload
	s_waitcnt vmcnt(5) lgkmcnt(6)
	v_mul_f64 v[52:53], v[106:107], v[22:23]
	v_mul_f64 v[54:55], v[106:107], v[20:21]
	s_waitcnt vmcnt(4) lgkmcnt(5)
	v_mul_f64 v[56:57], v[112:113], v[26:27]
	v_mul_f64 v[58:59], v[112:113], v[24:25]
	s_clause 0x1
	scratch_load_b128 v[112:115], off, off offset:56
	scratch_load_b128 v[106:109], off, off offset:24
	v_mul_f64 v[44:45], v[124:125], v[14:15]
	s_waitcnt vmcnt(4) lgkmcnt(2)
	v_mul_f64 v[76:77], v[158:159], v[142:143]
	v_mul_f64 v[36:37], v[128:129], v[6:7]
	v_mul_f64 v[38:39], v[128:129], v[4:5]
	v_mul_f64 v[46:47], v[124:125], v[12:13]
	s_waitcnt lgkmcnt(1)
	v_mul_f64 v[80:81], v[154:155], v[146:147]
	v_mul_f64 v[78:79], v[158:159], v[140:141]
	;; [unrolled: 1-line block ×3, first 2 shown]
	v_fma_f64 v[32:33], v[130:131], v[0:1], v[32:33]
	v_fma_f64 v[34:35], v[130:131], v[2:3], -v[34:35]
	v_fma_f64 v[40:41], v[116:117], v[8:9], v[40:41]
	v_fma_f64 v[42:43], v[116:117], v[10:11], -v[42:43]
	;; [unrolled: 2-line block ×4, first 2 shown]
	v_fma_f64 v[44:45], v[122:123], v[12:13], v[44:45]
	v_fma_f64 v[52:53], v[156:157], v[140:141], v[76:77]
	;; [unrolled: 1-line block ×3, first 2 shown]
	v_fma_f64 v[38:39], v[126:127], v[6:7], -v[38:39]
	v_fma_f64 v[46:47], v[122:123], v[14:15], -v[46:47]
	ds_load_b128 v[0:3], v243
	ds_load_b128 v[4:7], v243 offset:1088
	ds_load_b128 v[8:11], v243 offset:2176
	;; [unrolled: 1-line block ×3, first 2 shown]
	v_fma_f64 v[56:57], v[152:153], v[144:145], v[80:81]
	s_waitcnt vmcnt(0) lgkmcnt(0)
	s_barrier
	buffer_gl0_inv
	v_fma_f64 v[54:55], v[156:157], v[142:143], -v[78:79]
	v_fma_f64 v[58:59], v[152:153], v[146:147], -v[82:83]
	v_add_f64 v[40:41], v[32:33], -v[40:41]
	v_add_f64 v[42:43], v[34:35], -v[42:43]
	;; [unrolled: 1-line block ×6, first 2 shown]
	s_delay_alu instid0(VALU_DEP_1)
	v_fma_f64 v[104:105], v[14:15], 2.0, -v[58:59]
	v_mul_f64 v[84:85], v[134:135], v[150:151]
	v_mul_f64 v[86:87], v[134:135], v[148:149]
	;; [unrolled: 1-line block ×8, first 2 shown]
	v_fma_f64 v[16:17], v[118:119], v[16:17], v[48:49]
	v_fma_f64 v[18:19], v[118:119], v[18:19], -v[50:51]
	v_fma_f64 v[28:29], v[112:113], v[28:29], v[60:61]
	v_fma_f64 v[48:49], v[106:107], v[136:137], v[72:73]
	;; [unrolled: 1-line block ×3, first 2 shown]
	v_fma_f64 v[50:51], v[106:107], v[138:139], -v[74:75]
	v_fma_f64 v[30:31], v[112:113], v[30:31], -v[62:63]
	;; [unrolled: 1-line block ×3, first 2 shown]
	v_fma_f64 v[86:87], v[12:13], 2.0, -v[56:57]
	v_add_f64 v[72:73], v[4:5], -v[16:17]
	v_add_f64 v[74:75], v[6:7], -v[18:19]
	v_add_f64 v[16:17], v[44:45], -v[20:21]
	v_add_f64 v[18:19], v[46:47], -v[22:23]
	v_fma_f64 v[22:23], v[32:33], 2.0, -v[40:41]
	v_add_f64 v[76:77], v[8:9], -v[28:29]
	v_add_f64 v[28:29], v[24:25], -v[48:49]
	;; [unrolled: 1-line block ×5, first 2 shown]
	v_fma_f64 v[50:51], v[0:1], 2.0, -v[36:37]
	v_fma_f64 v[60:61], v[2:3], 2.0, -v[38:39]
	v_fma_f64 v[32:33], v[34:35], 2.0, -v[42:43]
	v_add_f64 v[0:1], v[36:37], v[42:43]
	v_add_f64 v[2:3], v[38:39], -v[40:41]
	v_add_f64 v[30:31], v[54:55], -v[62:63]
	v_fma_f64 v[62:63], v[4:5], 2.0, -v[72:73]
	v_fma_f64 v[80:81], v[6:7], 2.0, -v[74:75]
	;; [unrolled: 1-line block ×4, first 2 shown]
	v_add_f64 v[4:5], v[72:73], v[18:19]
	v_fma_f64 v[82:83], v[8:9], 2.0, -v[76:77]
	v_fma_f64 v[24:25], v[24:25], 2.0, -v[28:29]
	;; [unrolled: 1-line block ×3, first 2 shown]
	scratch_load_b32 v52, off, off offset:428 ; 4-byte Folded Reload
	v_fma_f64 v[84:85], v[10:11], 2.0, -v[78:79]
	v_add_f64 v[8:9], v[50:51], -v[22:23]
	v_fma_f64 v[26:27], v[26:27], 2.0, -v[20:21]
	v_add_f64 v[10:11], v[60:61], -v[32:33]
	;; [unrolled: 2-line block ×4, first 2 shown]
	v_add_f64 v[14:15], v[80:81], -v[34:35]
	v_fma_f64 v[34:35], v[38:39], 2.0, -v[2:3]
	v_add_f64 v[6:7], v[74:75], -v[16:17]
	v_add_f64 v[16:17], v[76:77], v[20:21]
	v_add_f64 v[20:21], v[82:83], -v[24:25]
	v_add_f64 v[24:25], v[56:57], v[30:31]
	v_add_f64 v[28:29], v[86:87], -v[44:45]
	v_fma_f64 v[40:41], v[50:51], 2.0, -v[8:9]
	v_add_f64 v[22:23], v[84:85], -v[26:27]
	v_fma_f64 v[42:43], v[60:61], 2.0, -v[10:11]
	;; [unrolled: 2-line block ×4, first 2 shown]
	s_waitcnt vmcnt(0)
	ds_store_b128 v52, v[8:11] offset:544
	ds_store_b128 v52, v[0:3] offset:816
	ds_store_b128 v52, v[40:43]
	ds_store_b128 v52, v[32:35] offset:272
	scratch_load_b32 v0, off, off offset:392 ; 4-byte Folded Reload
	v_fma_f64 v[44:45], v[62:63], 2.0, -v[12:13]
	v_fma_f64 v[46:47], v[80:81], 2.0, -v[14:15]
	;; [unrolled: 1-line block ×10, first 2 shown]
	s_waitcnt vmcnt(0)
	ds_store_b128 v0, v[44:47]
	ds_store_b128 v0, v[36:39] offset:272
	ds_store_b128 v0, v[12:15] offset:544
	ds_store_b128 v0, v[4:7] offset:816
	ds_store_b128 v245, v[136:139]
	ds_store_b128 v245, v[48:51] offset:272
	ds_store_b128 v245, v[20:23] offset:544
	ds_store_b128 v245, v[16:19] offset:816
	;; [unrolled: 4-line block ×3, first 2 shown]
	s_waitcnt lgkmcnt(0)
	s_barrier
	buffer_gl0_inv
	ds_load_b128 v[0:3], v243 offset:4352
	ds_load_b128 v[4:7], v243 offset:8704
	;; [unrolled: 1-line block ×12, first 2 shown]
	s_clause 0x3
	scratch_load_b128 v[116:119], off, off offset:200
	scratch_load_b128 v[122:125], off, off offset:232
	;; [unrolled: 1-line block ×4, first 2 shown]
	s_waitcnt lgkmcnt(11)
	v_mul_f64 v[48:49], v[70:71], v[2:3]
	v_mul_f64 v[50:51], v[70:71], v[0:1]
	s_waitcnt lgkmcnt(10)
	v_mul_f64 v[52:53], v[66:67], v[6:7]
	v_mul_f64 v[54:55], v[66:67], v[4:5]
	;; [unrolled: 3-line block ×4, first 2 shown]
	v_fma_f64 v[48:49], v[68:69], v[0:1], v[48:49]
	v_fma_f64 v[50:51], v[68:69], v[2:3], -v[50:51]
	v_fma_f64 v[52:53], v[64:65], v[4:5], v[52:53]
	v_fma_f64 v[54:55], v[64:65], v[6:7], -v[54:55]
	;; [unrolled: 2-line block ×4, first 2 shown]
	s_waitcnt vmcnt(3)
	v_mul_f64 v[56:57], v[118:119], v[10:11]
	s_waitcnt vmcnt(2) lgkmcnt(5)
	v_mul_f64 v[76:77], v[124:125], v[26:27]
	v_mul_f64 v[78:79], v[124:125], v[24:25]
	scratch_load_b128 v[124:127], off, off offset:248 ; 16-byte Folded Reload
	v_mul_f64 v[58:59], v[118:119], v[8:9]
	v_mul_f64 v[72:73], v[118:119], v[22:23]
	;; [unrolled: 1-line block ×3, first 2 shown]
	scratch_load_b128 v[118:121], off, off offset:216 ; 16-byte Folded Reload
	s_waitcnt vmcnt(3) lgkmcnt(2)
	v_mul_f64 v[106:107], v[136:137], v[36:37]
	v_mul_f64 v[104:105], v[136:137], v[38:39]
	v_fma_f64 v[56:57], v[116:117], v[8:9], v[56:57]
	v_fma_f64 v[24:25], v[122:123], v[24:25], v[76:77]
	v_fma_f64 v[26:27], v[122:123], v[26:27], -v[78:79]
	v_fma_f64 v[58:59], v[116:117], v[10:11], -v[58:59]
	v_fma_f64 v[20:21], v[116:117], v[20:21], v[72:73]
	v_fma_f64 v[22:23], v[116:117], v[22:23], -v[74:75]
	v_fma_f64 v[38:39], v[134:135], v[38:39], -v[106:107]
	v_fma_f64 v[36:37], v[134:135], v[36:37], v[104:105]
	v_add_f64 v[56:57], v[48:49], -v[56:57]
	v_add_f64 v[58:59], v[50:51], -v[58:59]
	s_waitcnt vmcnt(1)
	v_mul_f64 v[80:81], v[126:127], v[30:31]
	v_mul_f64 v[82:83], v[126:127], v[28:29]
	scratch_load_b128 v[126:129], off, off offset:264 ; 16-byte Folded Reload
	s_waitcnt lgkmcnt(1)
	v_mul_f64 v[108:109], v[132:133], v[42:43]
	s_waitcnt vmcnt(1)
	v_mul_f64 v[86:87], v[120:121], v[32:33]
	v_mul_f64 v[110:111], v[132:133], v[40:41]
	;; [unrolled: 1-line block ×3, first 2 shown]
	ds_load_b128 v[0:3], v243
	ds_load_b128 v[4:7], v243 offset:1088
	ds_load_b128 v[8:11], v243 offset:2176
	;; [unrolled: 1-line block ×3, first 2 shown]
	s_waitcnt vmcnt(0) lgkmcnt(0)
	s_barrier
	buffer_gl0_inv
	v_add_f64 v[52:53], v[0:1], -v[52:53]
	v_add_f64 v[54:55], v[2:3], -v[54:55]
	;; [unrolled: 1-line block ×6, first 2 shown]
	v_fma_f64 v[22:23], v[48:49], 2.0, -v[56:57]
	v_fma_f64 v[28:29], v[124:125], v[28:29], v[80:81]
	v_fma_f64 v[30:31], v[124:125], v[30:31], -v[82:83]
	v_fma_f64 v[40:41], v[130:131], v[40:41], v[108:109]
	v_fma_f64 v[34:35], v[118:119], v[34:35], -v[86:87]
	v_fma_f64 v[42:43], v[130:131], v[42:43], -v[110:111]
	v_fma_f64 v[32:33], v[118:119], v[32:33], v[84:85]
	v_fma_f64 v[48:49], v[4:5], 2.0, -v[64:65]
	v_add_f64 v[4:5], v[64:65], v[18:19]
	v_add_f64 v[68:69], v[8:9], -v[28:29]
	v_add_f64 v[70:71], v[10:11], -v[30:31]
	;; [unrolled: 1-line block ×5, first 2 shown]
	v_fma_f64 v[42:43], v[0:1], 2.0, -v[52:53]
	v_fma_f64 v[34:35], v[50:51], 2.0, -v[58:59]
	v_add_f64 v[28:29], v[24:25], -v[32:33]
	v_fma_f64 v[50:51], v[6:7], 2.0, -v[66:67]
	v_fma_f64 v[40:41], v[60:61], 2.0, -v[16:17]
	v_add_f64 v[0:1], v[52:53], v[58:59]
	v_add_f64 v[6:7], v[66:67], -v[16:17]
	v_fma_f64 v[60:61], v[8:9], 2.0, -v[68:69]
	v_fma_f64 v[76:77], v[12:13], 2.0, -v[72:73]
	v_add_f64 v[8:9], v[68:69], v[20:21]
	v_fma_f64 v[78:79], v[14:15], 2.0, -v[74:75]
	v_add_f64 v[12:13], v[42:43], -v[22:23]
	v_add_f64 v[16:17], v[48:49], -v[40:41]
	s_delay_alu instid0(VALU_DEP_4) | instskip(NEXT) | instid1(VALU_DEP_2)
	v_fma_f64 v[40:41], v[68:69], 2.0, -v[8:9]
	v_fma_f64 v[48:49], v[48:49], 2.0, -v[16:17]
	v_mul_f64 v[114:115], v[128:129], v[44:45]
	v_mul_f64 v[112:113], v[128:129], v[46:47]
	s_delay_alu instid0(VALU_DEP_2) | instskip(NEXT) | instid1(VALU_DEP_2)
	v_fma_f64 v[46:47], v[126:127], v[46:47], -v[114:115]
	v_fma_f64 v[44:45], v[126:127], v[44:45], v[112:113]
	s_delay_alu instid0(VALU_DEP_2) | instskip(SKIP_1) | instid1(VALU_DEP_3)
	v_add_f64 v[30:31], v[38:39], -v[46:47]
	v_fma_f64 v[46:47], v[2:3], 2.0, -v[54:55]
	v_add_f64 v[32:33], v[36:37], -v[44:45]
	v_fma_f64 v[44:45], v[62:63], 2.0, -v[18:19]
	v_fma_f64 v[62:63], v[10:11], 2.0, -v[70:71]
	;; [unrolled: 1-line block ×4, first 2 shown]
	v_add_f64 v[2:3], v[54:55], -v[56:57]
	v_add_f64 v[14:15], v[46:47], -v[34:35]
	v_fma_f64 v[26:27], v[36:37], 2.0, -v[32:33]
	v_add_f64 v[18:19], v[50:51], -v[44:45]
	v_fma_f64 v[36:37], v[38:39], 2.0, -v[30:31]
	v_fma_f64 v[44:45], v[42:43], 2.0, -v[12:13]
	v_add_f64 v[20:21], v[60:61], -v[10:11]
	v_add_f64 v[10:11], v[70:71], -v[28:29]
	v_fma_f64 v[34:35], v[54:55], 2.0, -v[2:3]
	v_add_f64 v[22:23], v[62:63], -v[24:25]
	v_add_f64 v[24:25], v[72:73], v[30:31]
	v_fma_f64 v[38:39], v[66:67], 2.0, -v[6:7]
	v_fma_f64 v[46:47], v[46:47], 2.0, -v[14:15]
	v_add_f64 v[28:29], v[76:77], -v[26:27]
	v_add_f64 v[26:27], v[74:75], -v[32:33]
	v_fma_f64 v[32:33], v[52:53], 2.0, -v[0:1]
	v_fma_f64 v[50:51], v[50:51], 2.0, -v[18:19]
	v_add_f64 v[30:31], v[78:79], -v[36:37]
	v_fma_f64 v[36:37], v[64:65], 2.0, -v[4:5]
	ds_store_b128 v243, v[12:15] offset:2176
	ds_store_b128 v243, v[0:3] offset:3264
	;; [unrolled: 1-line block ×4, first 2 shown]
	ds_store_b128 v243, v[44:47]
	ds_store_b128 v243, v[32:35] offset:1088
	ds_store_b128 v243, v[48:51] offset:4352
	;; [unrolled: 1-line block ×3, first 2 shown]
	scratch_load_b32 v0, off, off offset:452 ; 4-byte Folded Reload
	v_fma_f64 v[52:53], v[60:61], 2.0, -v[20:21]
	v_fma_f64 v[54:55], v[62:63], 2.0, -v[22:23]
	;; [unrolled: 1-line block ×7, first 2 shown]
	s_waitcnt vmcnt(0)
	ds_store_b128 v0, v[52:55] offset:8704
	ds_store_b128 v0, v[40:43] offset:9792
	;; [unrolled: 1-line block ×4, first 2 shown]
	scratch_load_b32 v0, off, off offset:448 ; 4-byte Folded Reload
	s_waitcnt vmcnt(0)
	ds_store_b128 v0, v[60:63] offset:13056
	ds_store_b128 v0, v[56:59] offset:14144
	;; [unrolled: 1-line block ×4, first 2 shown]
	s_waitcnt lgkmcnt(0)
	s_barrier
	buffer_gl0_inv
	ds_load_b128 v[0:3], v243 offset:8704
	ds_load_b128 v[4:7], v243 offset:9792
	;; [unrolled: 1-line block ×8, first 2 shown]
	s_waitcnt lgkmcnt(7)
	v_mul_f64 v[32:33], v[90:91], v[2:3]
	v_mul_f64 v[34:35], v[90:91], v[0:1]
	s_waitcnt lgkmcnt(6)
	v_mul_f64 v[36:37], v[94:95], v[6:7]
	v_mul_f64 v[38:39], v[94:95], v[4:5]
	s_waitcnt lgkmcnt(5)
	v_mul_f64 v[40:41], v[98:99], v[10:11]
	v_mul_f64 v[42:43], v[98:99], v[8:9]
	s_waitcnt lgkmcnt(4)
	v_mul_f64 v[44:45], v[102:103], v[14:15]
	v_mul_f64 v[46:47], v[102:103], v[12:13]
	s_waitcnt lgkmcnt(3)
	v_mul_f64 v[48:49], v[90:91], v[18:19]
	v_mul_f64 v[50:51], v[90:91], v[16:17]
	s_waitcnt lgkmcnt(2)
	v_mul_f64 v[52:53], v[94:95], v[22:23]
	v_mul_f64 v[54:55], v[94:95], v[20:21]
	s_waitcnt lgkmcnt(1)
	v_mul_f64 v[56:57], v[98:99], v[26:27]
	v_mul_f64 v[58:59], v[98:99], v[24:25]
	s_waitcnt lgkmcnt(0)
	v_mul_f64 v[60:61], v[102:103], v[30:31]
	v_mul_f64 v[62:63], v[102:103], v[28:29]
	v_fma_f64 v[32:33], v[88:89], v[0:1], v[32:33]
	v_fma_f64 v[34:35], v[88:89], v[2:3], -v[34:35]
	v_fma_f64 v[36:37], v[92:93], v[4:5], v[36:37]
	v_fma_f64 v[38:39], v[92:93], v[6:7], -v[38:39]
	;; [unrolled: 2-line block ×8, first 2 shown]
	ds_load_b128 v[0:3], v243
	ds_load_b128 v[4:7], v243 offset:1088
	ds_load_b128 v[8:11], v243 offset:2176
	;; [unrolled: 1-line block ×7, first 2 shown]
	s_waitcnt lgkmcnt(0)
	s_barrier
	buffer_gl0_inv
	v_add_f64 v[32:33], v[0:1], -v[32:33]
	v_add_f64 v[34:35], v[2:3], -v[34:35]
	;; [unrolled: 1-line block ×16, first 2 shown]
	v_fma_f64 v[0:1], v[0:1], 2.0, -v[32:33]
	v_fma_f64 v[2:3], v[2:3], 2.0, -v[34:35]
	;; [unrolled: 1-line block ×16, first 2 shown]
	ds_store_b128 v243, v[32:35] offset:4352
	ds_store_b128 v243, v[36:39] offset:5440
	;; [unrolled: 1-line block ×8, first 2 shown]
	ds_store_b128 v243, v[0:3]
	ds_store_b128 v243, v[4:7] offset:1088
	ds_store_b128 v243, v[8:11] offset:2176
	;; [unrolled: 1-line block ×7, first 2 shown]
	s_waitcnt lgkmcnt(0)
	s_barrier
	buffer_gl0_inv
	ds_load_b128 v[0:3], v243 offset:8704
	ds_load_b128 v[4:7], v243 offset:9792
	;; [unrolled: 1-line block ×8, first 2 shown]
	s_clause 0x1
	scratch_load_b128 v[64:67], off, off offset:312
	scratch_load_b128 v[72:75], off, off offset:360
	s_waitcnt vmcnt(1) lgkmcnt(7)
	v_mul_f64 v[32:33], v[66:67], v[2:3]
	v_mul_f64 v[34:35], v[66:67], v[0:1]
	scratch_load_b128 v[66:69], off, off offset:328 ; 16-byte Folded Reload
	s_waitcnt vmcnt(1) lgkmcnt(5)
	v_mul_f64 v[40:41], v[74:75], v[10:11]
	v_mul_f64 v[42:43], v[74:75], v[8:9]
	scratch_load_b128 v[74:77], off, off offset:376 ; 16-byte Folded Reload
	v_fma_f64 v[32:33], v[64:65], v[0:1], v[32:33]
	v_fma_f64 v[34:35], v[64:65], v[2:3], -v[34:35]
	v_fma_f64 v[40:41], v[72:73], v[8:9], v[40:41]
	v_fma_f64 v[42:43], v[72:73], v[10:11], -v[42:43]
	s_waitcnt vmcnt(1)
	v_mul_f64 v[36:37], v[68:69], v[6:7]
	v_mul_f64 v[38:39], v[68:69], v[4:5]
	scratch_load_b128 v[68:71], off, off offset:344 ; 16-byte Folded Reload
	s_waitcnt vmcnt(1) lgkmcnt(3)
	v_mul_f64 v[48:49], v[76:77], v[18:19]
	v_mul_f64 v[50:51], v[76:77], v[16:17]
	scratch_load_b128 v[76:79], off, off offset:396 ; 16-byte Folded Reload
	v_fma_f64 v[36:37], v[66:67], v[4:5], v[36:37]
	v_fma_f64 v[38:39], v[66:67], v[6:7], -v[38:39]
	v_fma_f64 v[48:49], v[74:75], v[16:17], v[48:49]
	v_fma_f64 v[50:51], v[74:75], v[18:19], -v[50:51]
	s_waitcnt vmcnt(1)
	v_mul_f64 v[44:45], v[70:71], v[14:15]
	v_mul_f64 v[46:47], v[70:71], v[12:13]
	s_waitcnt vmcnt(0) lgkmcnt(2)
	v_mul_f64 v[52:53], v[78:79], v[22:23]
	v_mul_f64 v[54:55], v[78:79], v[20:21]
	scratch_load_b128 v[78:81], off, off offset:412 ; 16-byte Folded Reload
	v_fma_f64 v[44:45], v[68:69], v[12:13], v[44:45]
	v_fma_f64 v[46:47], v[68:69], v[14:15], -v[46:47]
	v_fma_f64 v[52:53], v[76:77], v[20:21], v[52:53]
	v_fma_f64 v[54:55], v[76:77], v[22:23], -v[54:55]
	s_waitcnt vmcnt(0) lgkmcnt(1)
	v_mul_f64 v[56:57], v[80:81], v[26:27]
	v_mul_f64 v[58:59], v[80:81], v[24:25]
	scratch_load_b128 v[80:83], off, off offset:432 ; 16-byte Folded Reload
	v_fma_f64 v[56:57], v[78:79], v[24:25], v[56:57]
	v_fma_f64 v[58:59], v[78:79], v[26:27], -v[58:59]
	s_waitcnt vmcnt(0) lgkmcnt(0)
	v_mul_f64 v[60:61], v[82:83], v[30:31]
	v_mul_f64 v[62:63], v[82:83], v[28:29]
	s_delay_alu instid0(VALU_DEP_2) | instskip(NEXT) | instid1(VALU_DEP_2)
	v_fma_f64 v[60:61], v[80:81], v[28:29], v[60:61]
	v_fma_f64 v[62:63], v[80:81], v[30:31], -v[62:63]
	ds_load_b128 v[0:3], v243
	ds_load_b128 v[4:7], v243 offset:1088
	ds_load_b128 v[8:11], v243 offset:2176
	;; [unrolled: 1-line block ×7, first 2 shown]
	s_waitcnt lgkmcnt(7)
	v_add_f64 v[32:33], v[0:1], -v[32:33]
	v_add_f64 v[34:35], v[2:3], -v[34:35]
	s_waitcnt lgkmcnt(6)
	v_add_f64 v[36:37], v[4:5], -v[36:37]
	v_add_f64 v[38:39], v[6:7], -v[38:39]
	;; [unrolled: 3-line block ×8, first 2 shown]
	v_fma_f64 v[0:1], v[0:1], 2.0, -v[32:33]
	v_fma_f64 v[2:3], v[2:3], 2.0, -v[34:35]
	;; [unrolled: 1-line block ×16, first 2 shown]
	ds_store_b128 v247, v[36:39] offset:9792
	ds_store_b128 v247, v[40:43] offset:10880
	;; [unrolled: 1-line block ×5, first 2 shown]
	ds_store_b128 v247, v[0:3]
	ds_store_b128 v247, v[4:7] offset:1088
	ds_store_b128 v247, v[8:11] offset:2176
	ds_store_b128 v247, v[12:15] offset:3264
	ds_store_b128 v247, v[16:19] offset:4352
	ds_store_b128 v247, v[20:23] offset:5440
	ds_store_b128 v247, v[32:35] offset:8704
	ds_store_b128 v247, v[24:27] offset:6528
	ds_store_b128 v201, v[56:59] offset:8704
	ds_store_b128 v247, v[28:31] offset:7616
	ds_store_b128 v200, v[60:63] offset:8704
	s_waitcnt lgkmcnt(0)
	s_barrier
	buffer_gl0_inv
	s_and_b32 exec_lo, exec_lo, vcc_lo
	s_cbranch_execz .LBB0_15
; %bb.14:
	scratch_load_b32 v17, off, off offset:464 ; 4-byte Folded Reload
	s_mov_b32 s0, 0x1e1e1e1e
	s_mov_b32 s1, 0x3f4e1e1e
	s_waitcnt vmcnt(0)
	global_load_b128 v[0:3], v17, s[8:9]
	scratch_load_b32 v4, off, off offset:4  ; 4-byte Folded Reload
	s_waitcnt vmcnt(0)
	ds_load_b128 v[4:7], v4
	s_waitcnt lgkmcnt(0)
	v_mul_f64 v[8:9], v[6:7], v[2:3]
	v_mul_f64 v[2:3], v[4:5], v[2:3]
	s_delay_alu instid0(VALU_DEP_2) | instskip(NEXT) | instid1(VALU_DEP_2)
	v_fma_f64 v[4:5], v[4:5], v[0:1], v[8:9]
	v_fma_f64 v[0:1], v[0:1], v[6:7], -v[2:3]
	v_mad_u64_u32 v[6:7], null, s6, v248, 0
	v_mad_u64_u32 v[8:9], null, s4, v246, 0
	s_delay_alu instid0(VALU_DEP_4) | instskip(NEXT) | instid1(VALU_DEP_4)
	v_mul_f64 v[2:3], v[4:5], s[0:1]
	v_mul_f64 v[4:5], v[0:1], s[0:1]
	s_delay_alu instid0(VALU_DEP_3) | instskip(NEXT) | instid1(VALU_DEP_1)
	v_dual_mov_b32 v0, v7 :: v_dual_mov_b32 v1, v9
	v_mad_u64_u32 v[9:10], null, s7, v248, v[0:1]
	s_delay_alu instid0(VALU_DEP_1) | instskip(SKIP_1) | instid1(VALU_DEP_2)
	v_mov_b32_e32 v7, v9
	v_mad_u64_u32 v[10:11], null, s5, v246, v[1:2]
	v_lshlrev_b64 v[0:1], 4, v[6:7]
	s_delay_alu instid0(VALU_DEP_1) | instskip(NEXT) | instid1(VALU_DEP_3)
	v_add_co_u32 v0, vcc_lo, s12, v0
	v_mov_b32_e32 v9, v10
	s_delay_alu instid0(VALU_DEP_3) | instskip(NEXT) | instid1(VALU_DEP_2)
	v_add_co_ci_u32_e32 v1, vcc_lo, s13, v1, vcc_lo
	v_lshlrev_b64 v[6:7], 4, v[8:9]
	s_delay_alu instid0(VALU_DEP_1) | instskip(NEXT) | instid1(VALU_DEP_2)
	v_add_co_u32 v6, vcc_lo, v0, v6
	v_add_co_ci_u32_e32 v7, vcc_lo, v1, v7, vcc_lo
	global_store_b128 v[6:7], v[2:5], off
	global_load_b128 v[3:6], v17, s[8:9] offset:1024
	scratch_load_b32 v2, off, off           ; 4-byte Folded Reload
	s_waitcnt vmcnt(0)
	v_lshl_add_u32 v2, v2, 4, v242
	ds_load_b128 v[7:10], v2 offset:1024
	ds_load_b128 v[11:14], v2 offset:2048
	scratch_load_b32 v18, off, off offset:472 ; 4-byte Folded Reload
	s_waitcnt lgkmcnt(1)
	v_mul_f64 v[15:16], v[9:10], v[5:6]
	v_mul_f64 v[5:6], v[7:8], v[5:6]
	s_delay_alu instid0(VALU_DEP_2) | instskip(NEXT) | instid1(VALU_DEP_2)
	v_fma_f64 v[7:8], v[7:8], v[3:4], v[15:16]
	v_fma_f64 v[5:6], v[3:4], v[9:10], -v[5:6]
	s_delay_alu instid0(VALU_DEP_2) | instskip(NEXT) | instid1(VALU_DEP_2)
	v_mul_f64 v[3:4], v[7:8], s[0:1]
	v_mul_f64 v[5:6], v[5:6], s[0:1]
	s_waitcnt vmcnt(0)
	v_mad_u64_u32 v[9:10], null, s4, v18, 0
	s_delay_alu instid0(VALU_DEP_1) | instskip(NEXT) | instid1(VALU_DEP_1)
	v_mov_b32_e32 v7, v10
	v_mad_u64_u32 v[15:16], null, s5, v18, v[7:8]
	s_delay_alu instid0(VALU_DEP_1) | instskip(NEXT) | instid1(VALU_DEP_1)
	v_mov_b32_e32 v10, v15
	v_lshlrev_b64 v[7:8], 4, v[9:10]
	s_delay_alu instid0(VALU_DEP_1) | instskip(NEXT) | instid1(VALU_DEP_2)
	v_add_co_u32 v7, vcc_lo, v0, v7
	v_add_co_ci_u32_e32 v8, vcc_lo, v1, v8, vcc_lo
	global_store_b128 v[7:8], v[3:6], off
	global_load_b128 v[3:6], v17, s[8:9] offset:2048
	s_waitcnt vmcnt(0) lgkmcnt(0)
	v_mul_f64 v[7:8], v[13:14], v[5:6]
	v_mul_f64 v[5:6], v[11:12], v[5:6]
	s_delay_alu instid0(VALU_DEP_2) | instskip(SKIP_3) | instid1(VALU_DEP_2)
	v_fma_f64 v[7:8], v[11:12], v[3:4], v[7:8]
	scratch_load_b32 v12, off, off offset:468 ; 4-byte Folded Reload
	v_fma_f64 v[5:6], v[3:4], v[13:14], -v[5:6]
	v_mul_f64 v[3:4], v[7:8], s[0:1]
	v_mul_f64 v[5:6], v[5:6], s[0:1]
	s_waitcnt vmcnt(0)
	v_mad_u64_u32 v[9:10], null, s4, v12, 0
	s_delay_alu instid0(VALU_DEP_1) | instskip(NEXT) | instid1(VALU_DEP_1)
	v_mov_b32_e32 v7, v10
	v_mad_u64_u32 v[10:11], null, s5, v12, v[7:8]
	s_delay_alu instid0(VALU_DEP_1) | instskip(NEXT) | instid1(VALU_DEP_1)
	v_lshlrev_b64 v[7:8], 4, v[9:10]
	v_add_co_u32 v7, vcc_lo, v0, v7
	s_delay_alu instid0(VALU_DEP_2)
	v_add_co_ci_u32_e32 v8, vcc_lo, v1, v8, vcc_lo
	global_store_b128 v[7:8], v[3:6], off
	global_load_b128 v[3:6], v17, s[8:9] offset:3072
	ds_load_b128 v[7:10], v2 offset:3072
	ds_load_b128 v[11:14], v2 offset:4096
	scratch_load_b32 v17, off, off offset:460 ; 4-byte Folded Reload
	s_waitcnt vmcnt(1) lgkmcnt(1)
	v_mul_f64 v[15:16], v[9:10], v[5:6]
	v_mul_f64 v[5:6], v[7:8], v[5:6]
	s_delay_alu instid0(VALU_DEP_2) | instskip(NEXT) | instid1(VALU_DEP_2)
	v_fma_f64 v[7:8], v[7:8], v[3:4], v[15:16]
	v_fma_f64 v[5:6], v[3:4], v[9:10], -v[5:6]
	s_waitcnt vmcnt(0)
	v_mad_u64_u32 v[9:10], null, s4, v17, 0
	s_delay_alu instid0(VALU_DEP_3) | instskip(NEXT) | instid1(VALU_DEP_2)
	v_mul_f64 v[3:4], v[7:8], s[0:1]
	v_mov_b32_e32 v7, v10
	s_delay_alu instid0(VALU_DEP_4) | instskip(NEXT) | instid1(VALU_DEP_2)
	v_mul_f64 v[5:6], v[5:6], s[0:1]
	v_mad_u64_u32 v[15:16], null, s5, v17, v[7:8]
	s_delay_alu instid0(VALU_DEP_1) | instskip(SKIP_2) | instid1(VALU_DEP_1)
	v_mov_b32_e32 v10, v15
	scratch_load_b32 v15, off, off offset:456 ; 4-byte Folded Reload
	v_lshlrev_b64 v[7:8], 4, v[9:10]
	v_add_co_u32 v7, vcc_lo, v0, v7
	s_delay_alu instid0(VALU_DEP_2)
	v_add_co_ci_u32_e32 v8, vcc_lo, v1, v8, vcc_lo
	global_store_b128 v[7:8], v[3:6], off
	s_waitcnt vmcnt(0)
	v_lshlrev_b32_e32 v9, 4, v15
	global_load_b128 v[3:6], v9, s[8:9]
	v_mad_u64_u32 v[9:10], null, s4, v15, 0
	s_waitcnt vmcnt(0) lgkmcnt(0)
	v_mul_f64 v[7:8], v[13:14], v[5:6]
	v_mul_f64 v[5:6], v[11:12], v[5:6]
	s_delay_alu instid0(VALU_DEP_2) | instskip(NEXT) | instid1(VALU_DEP_2)
	v_fma_f64 v[7:8], v[11:12], v[3:4], v[7:8]
	v_fma_f64 v[5:6], v[3:4], v[13:14], -v[5:6]
	s_delay_alu instid0(VALU_DEP_2) | instskip(NEXT) | instid1(VALU_DEP_2)
	v_mul_f64 v[3:4], v[7:8], s[0:1]
	v_mul_f64 v[5:6], v[5:6], s[0:1]
	v_mov_b32_e32 v7, v10
	s_delay_alu instid0(VALU_DEP_1) | instskip(NEXT) | instid1(VALU_DEP_1)
	v_mad_u64_u32 v[10:11], null, s5, v15, v[7:8]
	v_lshlrev_b64 v[7:8], 4, v[9:10]
	v_lshlrev_b32_e32 v9, 4, v255
	s_delay_alu instid0(VALU_DEP_2) | instskip(NEXT) | instid1(VALU_DEP_3)
	v_add_co_u32 v7, vcc_lo, v0, v7
	v_add_co_ci_u32_e32 v8, vcc_lo, v1, v8, vcc_lo
	global_store_b128 v[7:8], v[3:6], off
	global_load_b128 v[3:6], v9, s[8:9]
	ds_load_b128 v[7:10], v2 offset:5120
	ds_load_b128 v[11:14], v2 offset:6144
	s_waitcnt vmcnt(0) lgkmcnt(1)
	v_mul_f64 v[15:16], v[9:10], v[5:6]
	v_mul_f64 v[5:6], v[7:8], v[5:6]
	s_delay_alu instid0(VALU_DEP_2) | instskip(NEXT) | instid1(VALU_DEP_2)
	v_fma_f64 v[7:8], v[7:8], v[3:4], v[15:16]
	v_fma_f64 v[5:6], v[3:4], v[9:10], -v[5:6]
	v_mad_u64_u32 v[9:10], null, s4, v255, 0
	s_delay_alu instid0(VALU_DEP_3) | instskip(NEXT) | instid1(VALU_DEP_3)
	v_mul_f64 v[3:4], v[7:8], s[0:1]
	v_mul_f64 v[5:6], v[5:6], s[0:1]
	s_delay_alu instid0(VALU_DEP_3) | instskip(NEXT) | instid1(VALU_DEP_1)
	v_mov_b32_e32 v7, v10
	v_mad_u64_u32 v[15:16], null, s5, v255, v[7:8]
	s_delay_alu instid0(VALU_DEP_1) | instskip(NEXT) | instid1(VALU_DEP_1)
	v_mov_b32_e32 v10, v15
	v_lshlrev_b64 v[7:8], 4, v[9:10]
	v_lshlrev_b32_e32 v9, 4, v254
	s_delay_alu instid0(VALU_DEP_2) | instskip(NEXT) | instid1(VALU_DEP_3)
	v_add_co_u32 v7, vcc_lo, v0, v7
	v_add_co_ci_u32_e32 v8, vcc_lo, v1, v8, vcc_lo
	global_store_b128 v[7:8], v[3:6], off
	global_load_b128 v[3:6], v9, s[8:9]
	v_mad_u64_u32 v[9:10], null, s4, v254, 0
	s_waitcnt vmcnt(0) lgkmcnt(0)
	v_mul_f64 v[7:8], v[13:14], v[5:6]
	v_mul_f64 v[5:6], v[11:12], v[5:6]
	s_delay_alu instid0(VALU_DEP_2) | instskip(NEXT) | instid1(VALU_DEP_2)
	v_fma_f64 v[7:8], v[11:12], v[3:4], v[7:8]
	v_fma_f64 v[5:6], v[3:4], v[13:14], -v[5:6]
	s_delay_alu instid0(VALU_DEP_2) | instskip(NEXT) | instid1(VALU_DEP_2)
	v_mul_f64 v[3:4], v[7:8], s[0:1]
	v_mul_f64 v[5:6], v[5:6], s[0:1]
	v_mov_b32_e32 v7, v10
	s_delay_alu instid0(VALU_DEP_1) | instskip(NEXT) | instid1(VALU_DEP_1)
	v_mad_u64_u32 v[10:11], null, s5, v254, v[7:8]
	v_lshlrev_b64 v[7:8], 4, v[9:10]
	v_lshlrev_b32_e32 v9, 4, v253
	s_delay_alu instid0(VALU_DEP_2) | instskip(NEXT) | instid1(VALU_DEP_3)
	v_add_co_u32 v7, vcc_lo, v0, v7
	v_add_co_ci_u32_e32 v8, vcc_lo, v1, v8, vcc_lo
	global_store_b128 v[7:8], v[3:6], off
	global_load_b128 v[3:6], v9, s[8:9]
	ds_load_b128 v[7:10], v2 offset:7168
	ds_load_b128 v[11:14], v2 offset:8192
	scratch_load_b32 v17, off, off offset:484 ; 4-byte Folded Reload
	s_waitcnt vmcnt(1) lgkmcnt(1)
	v_mul_f64 v[15:16], v[9:10], v[5:6]
	v_mul_f64 v[5:6], v[7:8], v[5:6]
	s_delay_alu instid0(VALU_DEP_2) | instskip(NEXT) | instid1(VALU_DEP_2)
	v_fma_f64 v[7:8], v[7:8], v[3:4], v[15:16]
	v_fma_f64 v[5:6], v[3:4], v[9:10], -v[5:6]
	v_mad_u64_u32 v[9:10], null, s4, v253, 0
	s_delay_alu instid0(VALU_DEP_3) | instskip(NEXT) | instid1(VALU_DEP_3)
	v_mul_f64 v[3:4], v[7:8], s[0:1]
	v_mul_f64 v[5:6], v[5:6], s[0:1]
	s_delay_alu instid0(VALU_DEP_3) | instskip(NEXT) | instid1(VALU_DEP_1)
	v_mov_b32_e32 v7, v10
	v_mad_u64_u32 v[15:16], null, s5, v253, v[7:8]
	s_delay_alu instid0(VALU_DEP_1) | instskip(NEXT) | instid1(VALU_DEP_1)
	v_mov_b32_e32 v10, v15
	v_lshlrev_b64 v[7:8], 4, v[9:10]
	v_lshlrev_b32_e32 v9, 4, v252
	s_delay_alu instid0(VALU_DEP_2) | instskip(NEXT) | instid1(VALU_DEP_3)
	v_add_co_u32 v7, vcc_lo, v0, v7
	v_add_co_ci_u32_e32 v8, vcc_lo, v1, v8, vcc_lo
	global_store_b128 v[7:8], v[3:6], off
	global_load_b128 v[3:6], v9, s[8:9]
	v_mad_u64_u32 v[9:10], null, s4, v252, 0
	s_waitcnt vmcnt(0) lgkmcnt(0)
	v_mul_f64 v[7:8], v[13:14], v[5:6]
	v_mul_f64 v[5:6], v[11:12], v[5:6]
	s_delay_alu instid0(VALU_DEP_2) | instskip(NEXT) | instid1(VALU_DEP_2)
	v_fma_f64 v[7:8], v[11:12], v[3:4], v[7:8]
	v_fma_f64 v[5:6], v[3:4], v[13:14], -v[5:6]
	s_delay_alu instid0(VALU_DEP_2) | instskip(NEXT) | instid1(VALU_DEP_2)
	v_mul_f64 v[3:4], v[7:8], s[0:1]
	v_mul_f64 v[5:6], v[5:6], s[0:1]
	v_mov_b32_e32 v7, v10
	s_delay_alu instid0(VALU_DEP_1) | instskip(NEXT) | instid1(VALU_DEP_1)
	v_mad_u64_u32 v[10:11], null, s5, v252, v[7:8]
	v_lshlrev_b64 v[7:8], 4, v[9:10]
	v_lshlrev_b32_e32 v9, 4, v17
	s_delay_alu instid0(VALU_DEP_2) | instskip(NEXT) | instid1(VALU_DEP_3)
	v_add_co_u32 v7, vcc_lo, v0, v7
	v_add_co_ci_u32_e32 v8, vcc_lo, v1, v8, vcc_lo
	global_store_b128 v[7:8], v[3:6], off
	global_load_b128 v[3:6], v9, s[8:9]
	ds_load_b128 v[7:10], v2 offset:9216
	ds_load_b128 v[11:14], v2 offset:10240
	s_waitcnt vmcnt(0) lgkmcnt(1)
	v_mul_f64 v[15:16], v[9:10], v[5:6]
	v_mul_f64 v[5:6], v[7:8], v[5:6]
	s_delay_alu instid0(VALU_DEP_2) | instskip(NEXT) | instid1(VALU_DEP_2)
	v_fma_f64 v[7:8], v[7:8], v[3:4], v[15:16]
	v_fma_f64 v[5:6], v[3:4], v[9:10], -v[5:6]
	v_mad_u64_u32 v[9:10], null, s4, v17, 0
	s_delay_alu instid0(VALU_DEP_3) | instskip(NEXT) | instid1(VALU_DEP_3)
	v_mul_f64 v[3:4], v[7:8], s[0:1]
	v_mul_f64 v[5:6], v[5:6], s[0:1]
	s_delay_alu instid0(VALU_DEP_3) | instskip(NEXT) | instid1(VALU_DEP_1)
	v_mov_b32_e32 v7, v10
	v_mad_u64_u32 v[15:16], null, s5, v17, v[7:8]
	s_delay_alu instid0(VALU_DEP_1) | instskip(NEXT) | instid1(VALU_DEP_1)
	v_mov_b32_e32 v10, v15
	v_lshlrev_b64 v[7:8], 4, v[9:10]
	v_lshlrev_b32_e32 v9, 4, v224
	s_delay_alu instid0(VALU_DEP_2) | instskip(NEXT) | instid1(VALU_DEP_3)
	v_add_co_u32 v7, vcc_lo, v0, v7
	v_add_co_ci_u32_e32 v8, vcc_lo, v1, v8, vcc_lo
	global_store_b128 v[7:8], v[3:6], off
	global_load_b128 v[3:6], v9, s[8:9]
	v_mad_u64_u32 v[9:10], null, s4, v224, 0
	s_waitcnt vmcnt(0) lgkmcnt(0)
	v_mul_f64 v[7:8], v[13:14], v[5:6]
	v_mul_f64 v[5:6], v[11:12], v[5:6]
	s_delay_alu instid0(VALU_DEP_2) | instskip(NEXT) | instid1(VALU_DEP_2)
	v_fma_f64 v[7:8], v[11:12], v[3:4], v[7:8]
	v_fma_f64 v[5:6], v[3:4], v[13:14], -v[5:6]
	s_delay_alu instid0(VALU_DEP_2) | instskip(NEXT) | instid1(VALU_DEP_2)
	v_mul_f64 v[3:4], v[7:8], s[0:1]
	v_mul_f64 v[5:6], v[5:6], s[0:1]
	v_mov_b32_e32 v7, v10
	s_delay_alu instid0(VALU_DEP_1) | instskip(NEXT) | instid1(VALU_DEP_1)
	v_mad_u64_u32 v[10:11], null, s5, v224, v[7:8]
	v_lshlrev_b64 v[7:8], 4, v[9:10]
	v_lshlrev_b32_e32 v9, 4, v225
	s_delay_alu instid0(VALU_DEP_2) | instskip(NEXT) | instid1(VALU_DEP_3)
	v_add_co_u32 v7, vcc_lo, v0, v7
	v_add_co_ci_u32_e32 v8, vcc_lo, v1, v8, vcc_lo
	global_store_b128 v[7:8], v[3:6], off
	global_load_b128 v[3:6], v9, s[8:9]
	ds_load_b128 v[7:10], v2 offset:11264
	ds_load_b128 v[11:14], v2 offset:12288
	scratch_load_b32 v17, off, off offset:480 ; 4-byte Folded Reload
	s_waitcnt vmcnt(1) lgkmcnt(1)
	v_mul_f64 v[15:16], v[9:10], v[5:6]
	v_mul_f64 v[5:6], v[7:8], v[5:6]
	s_delay_alu instid0(VALU_DEP_2) | instskip(NEXT) | instid1(VALU_DEP_2)
	v_fma_f64 v[7:8], v[7:8], v[3:4], v[15:16]
	v_fma_f64 v[5:6], v[3:4], v[9:10], -v[5:6]
	v_mad_u64_u32 v[9:10], null, s4, v225, 0
	s_delay_alu instid0(VALU_DEP_3) | instskip(NEXT) | instid1(VALU_DEP_2)
	v_mul_f64 v[3:4], v[7:8], s[0:1]
	v_mov_b32_e32 v7, v10
	s_delay_alu instid0(VALU_DEP_4) | instskip(NEXT) | instid1(VALU_DEP_2)
	v_mul_f64 v[5:6], v[5:6], s[0:1]
	v_mad_u64_u32 v[15:16], null, s5, v225, v[7:8]
	s_delay_alu instid0(VALU_DEP_1) | instskip(SKIP_2) | instid1(VALU_DEP_1)
	v_mov_b32_e32 v10, v15
	scratch_load_b32 v15, off, off offset:476 ; 4-byte Folded Reload
	v_lshlrev_b64 v[7:8], 4, v[9:10]
	v_add_co_u32 v7, vcc_lo, v0, v7
	s_delay_alu instid0(VALU_DEP_2)
	v_add_co_ci_u32_e32 v8, vcc_lo, v1, v8, vcc_lo
	global_store_b128 v[7:8], v[3:6], off
	s_waitcnt vmcnt(0)
	v_lshlrev_b32_e32 v9, 4, v15
	global_load_b128 v[3:6], v9, s[8:9]
	v_mad_u64_u32 v[9:10], null, s4, v15, 0
	s_waitcnt vmcnt(0) lgkmcnt(0)
	v_mul_f64 v[7:8], v[13:14], v[5:6]
	v_mul_f64 v[5:6], v[11:12], v[5:6]
	s_delay_alu instid0(VALU_DEP_2) | instskip(NEXT) | instid1(VALU_DEP_2)
	v_fma_f64 v[7:8], v[11:12], v[3:4], v[7:8]
	v_fma_f64 v[5:6], v[3:4], v[13:14], -v[5:6]
	s_delay_alu instid0(VALU_DEP_2) | instskip(NEXT) | instid1(VALU_DEP_2)
	v_mul_f64 v[3:4], v[7:8], s[0:1]
	v_mul_f64 v[5:6], v[5:6], s[0:1]
	v_mov_b32_e32 v7, v10
	s_delay_alu instid0(VALU_DEP_1) | instskip(NEXT) | instid1(VALU_DEP_1)
	v_mad_u64_u32 v[10:11], null, s5, v15, v[7:8]
	v_lshlrev_b64 v[7:8], 4, v[9:10]
	v_lshlrev_b32_e32 v9, 4, v17
	s_delay_alu instid0(VALU_DEP_2) | instskip(NEXT) | instid1(VALU_DEP_3)
	v_add_co_u32 v7, vcc_lo, v0, v7
	v_add_co_ci_u32_e32 v8, vcc_lo, v1, v8, vcc_lo
	global_store_b128 v[7:8], v[3:6], off
	global_load_b128 v[3:6], v9, s[8:9]
	ds_load_b128 v[7:10], v2 offset:13312
	ds_load_b128 v[11:14], v2 offset:14336
	s_waitcnt vmcnt(0) lgkmcnt(1)
	v_mul_f64 v[15:16], v[9:10], v[5:6]
	v_mul_f64 v[5:6], v[7:8], v[5:6]
	s_delay_alu instid0(VALU_DEP_2) | instskip(NEXT) | instid1(VALU_DEP_2)
	v_fma_f64 v[7:8], v[7:8], v[3:4], v[15:16]
	v_fma_f64 v[5:6], v[3:4], v[9:10], -v[5:6]
	v_mad_u64_u32 v[9:10], null, s4, v17, 0
	s_delay_alu instid0(VALU_DEP_3) | instskip(NEXT) | instid1(VALU_DEP_3)
	v_mul_f64 v[3:4], v[7:8], s[0:1]
	v_mul_f64 v[5:6], v[5:6], s[0:1]
	s_delay_alu instid0(VALU_DEP_3) | instskip(NEXT) | instid1(VALU_DEP_1)
	v_mov_b32_e32 v7, v10
	v_mad_u64_u32 v[15:16], null, s5, v17, v[7:8]
	v_or_b32_e32 v17, 0x3c0, v246
	s_delay_alu instid0(VALU_DEP_2) | instskip(SKIP_1) | instid1(VALU_DEP_2)
	v_mov_b32_e32 v10, v15
	v_or_b32_e32 v15, 0x380, v246
	v_lshlrev_b64 v[7:8], 4, v[9:10]
	s_delay_alu instid0(VALU_DEP_2) | instskip(NEXT) | instid1(VALU_DEP_2)
	v_lshlrev_b32_e32 v9, 4, v15
	v_add_co_u32 v7, vcc_lo, v0, v7
	s_delay_alu instid0(VALU_DEP_3)
	v_add_co_ci_u32_e32 v8, vcc_lo, v1, v8, vcc_lo
	global_store_b128 v[7:8], v[3:6], off
	global_load_b128 v[3:6], v9, s[8:9]
	v_mad_u64_u32 v[9:10], null, s4, v15, 0
	s_waitcnt vmcnt(0) lgkmcnt(0)
	v_mul_f64 v[7:8], v[13:14], v[5:6]
	v_mul_f64 v[5:6], v[11:12], v[5:6]
	s_delay_alu instid0(VALU_DEP_2) | instskip(NEXT) | instid1(VALU_DEP_2)
	v_fma_f64 v[7:8], v[11:12], v[3:4], v[7:8]
	v_fma_f64 v[5:6], v[3:4], v[13:14], -v[5:6]
	s_delay_alu instid0(VALU_DEP_2) | instskip(NEXT) | instid1(VALU_DEP_2)
	v_mul_f64 v[3:4], v[7:8], s[0:1]
	v_mul_f64 v[5:6], v[5:6], s[0:1]
	v_mov_b32_e32 v7, v10
	s_delay_alu instid0(VALU_DEP_1) | instskip(NEXT) | instid1(VALU_DEP_1)
	v_mad_u64_u32 v[10:11], null, s5, v15, v[7:8]
	v_lshlrev_b64 v[7:8], 4, v[9:10]
	v_lshlrev_b32_e32 v9, 4, v17
	s_delay_alu instid0(VALU_DEP_2) | instskip(NEXT) | instid1(VALU_DEP_3)
	v_add_co_u32 v7, vcc_lo, v0, v7
	v_add_co_ci_u32_e32 v8, vcc_lo, v1, v8, vcc_lo
	global_store_b128 v[7:8], v[3:6], off
	global_load_b128 v[3:6], v9, s[8:9]
	ds_load_b128 v[7:10], v2 offset:15360
	ds_load_b128 v[11:14], v2 offset:16384
	s_waitcnt vmcnt(0) lgkmcnt(1)
	v_mul_f64 v[15:16], v[9:10], v[5:6]
	v_mul_f64 v[5:6], v[7:8], v[5:6]
	s_delay_alu instid0(VALU_DEP_2) | instskip(NEXT) | instid1(VALU_DEP_2)
	v_fma_f64 v[7:8], v[7:8], v[3:4], v[15:16]
	v_fma_f64 v[4:5], v[3:4], v[9:10], -v[5:6]
	v_mad_u64_u32 v[9:10], null, s4, v17, 0
	v_or_b32_e32 v15, 0x400, v246
	s_delay_alu instid0(VALU_DEP_2) | instskip(SKIP_2) | instid1(VALU_DEP_3)
	v_mov_b32_e32 v6, v10
	v_mul_f64 v[2:3], v[7:8], s[0:1]
	v_mul_f64 v[4:5], v[4:5], s[0:1]
	v_mad_u64_u32 v[7:8], null, s5, v17, v[6:7]
	v_lshlrev_b32_e32 v8, 4, v15
	s_delay_alu instid0(VALU_DEP_2) | instskip(NEXT) | instid1(VALU_DEP_1)
	v_mov_b32_e32 v10, v7
	v_lshlrev_b64 v[6:7], 4, v[9:10]
	s_delay_alu instid0(VALU_DEP_1) | instskip(NEXT) | instid1(VALU_DEP_2)
	v_add_co_u32 v6, vcc_lo, v0, v6
	v_add_co_ci_u32_e32 v7, vcc_lo, v1, v7, vcc_lo
	global_store_b128 v[6:7], v[2:5], off
	global_load_b128 v[2:5], v8, s[8:9]
	v_mad_u64_u32 v[8:9], null, s4, v15, 0
	s_waitcnt vmcnt(0) lgkmcnt(0)
	v_mul_f64 v[6:7], v[13:14], v[4:5]
	v_mul_f64 v[4:5], v[11:12], v[4:5]
	s_delay_alu instid0(VALU_DEP_2) | instskip(NEXT) | instid1(VALU_DEP_2)
	v_fma_f64 v[6:7], v[11:12], v[2:3], v[6:7]
	v_fma_f64 v[4:5], v[2:3], v[13:14], -v[4:5]
	s_delay_alu instid0(VALU_DEP_2) | instskip(NEXT) | instid1(VALU_DEP_2)
	v_mul_f64 v[2:3], v[6:7], s[0:1]
	v_mul_f64 v[4:5], v[4:5], s[0:1]
	v_mov_b32_e32 v6, v9
                                        ; kill: def $vgpr7 killed $sgpr0 killed $exec
	s_delay_alu instid0(VALU_DEP_1) | instskip(NEXT) | instid1(VALU_DEP_1)
	v_mad_u64_u32 v[9:10], null, s5, v15, v[6:7]
	v_lshlrev_b64 v[6:7], 4, v[8:9]
	s_delay_alu instid0(VALU_DEP_1) | instskip(NEXT) | instid1(VALU_DEP_2)
	v_add_co_u32 v0, vcc_lo, v0, v6
	v_add_co_ci_u32_e32 v1, vcc_lo, v1, v7, vcc_lo
	global_store_b128 v[0:1], v[2:5], off
.LBB0_15:
	s_nop 0
	s_sendmsg sendmsg(MSG_DEALLOC_VGPRS)
	s_endpgm
	.section	.rodata,"a",@progbits
	.p2align	6, 0x0
	.amdhsa_kernel bluestein_single_fwd_len1088_dim1_dp_op_CI_CI
		.amdhsa_group_segment_fixed_size 52224
		.amdhsa_private_segment_fixed_size 700
		.amdhsa_kernarg_size 104
		.amdhsa_user_sgpr_count 15
		.amdhsa_user_sgpr_dispatch_ptr 0
		.amdhsa_user_sgpr_queue_ptr 0
		.amdhsa_user_sgpr_kernarg_segment_ptr 1
		.amdhsa_user_sgpr_dispatch_id 0
		.amdhsa_user_sgpr_private_segment_size 0
		.amdhsa_wavefront_size32 1
		.amdhsa_uses_dynamic_stack 0
		.amdhsa_enable_private_segment 1
		.amdhsa_system_sgpr_workgroup_id_x 1
		.amdhsa_system_sgpr_workgroup_id_y 0
		.amdhsa_system_sgpr_workgroup_id_z 0
		.amdhsa_system_sgpr_workgroup_info 0
		.amdhsa_system_vgpr_workitem_id 0
		.amdhsa_next_free_vgpr 256
		.amdhsa_next_free_sgpr 58
		.amdhsa_reserve_vcc 1
		.amdhsa_float_round_mode_32 0
		.amdhsa_float_round_mode_16_64 0
		.amdhsa_float_denorm_mode_32 3
		.amdhsa_float_denorm_mode_16_64 3
		.amdhsa_dx10_clamp 1
		.amdhsa_ieee_mode 1
		.amdhsa_fp16_overflow 0
		.amdhsa_workgroup_processor_mode 1
		.amdhsa_memory_ordered 1
		.amdhsa_forward_progress 0
		.amdhsa_shared_vgpr_count 0
		.amdhsa_exception_fp_ieee_invalid_op 0
		.amdhsa_exception_fp_denorm_src 0
		.amdhsa_exception_fp_ieee_div_zero 0
		.amdhsa_exception_fp_ieee_overflow 0
		.amdhsa_exception_fp_ieee_underflow 0
		.amdhsa_exception_fp_ieee_inexact 0
		.amdhsa_exception_int_div_zero 0
	.end_amdhsa_kernel
	.text
.Lfunc_end0:
	.size	bluestein_single_fwd_len1088_dim1_dp_op_CI_CI, .Lfunc_end0-bluestein_single_fwd_len1088_dim1_dp_op_CI_CI
                                        ; -- End function
	.section	.AMDGPU.csdata,"",@progbits
; Kernel info:
; codeLenInByte = 30440
; NumSgprs: 60
; NumVgprs: 256
; ScratchSize: 700
; MemoryBound: 0
; FloatMode: 240
; IeeeMode: 1
; LDSByteSize: 52224 bytes/workgroup (compile time only)
; SGPRBlocks: 7
; VGPRBlocks: 31
; NumSGPRsForWavesPerEU: 60
; NumVGPRsForWavesPerEU: 256
; Occupancy: 4
; WaveLimiterHint : 1
; COMPUTE_PGM_RSRC2:SCRATCH_EN: 1
; COMPUTE_PGM_RSRC2:USER_SGPR: 15
; COMPUTE_PGM_RSRC2:TRAP_HANDLER: 0
; COMPUTE_PGM_RSRC2:TGID_X_EN: 1
; COMPUTE_PGM_RSRC2:TGID_Y_EN: 0
; COMPUTE_PGM_RSRC2:TGID_Z_EN: 0
; COMPUTE_PGM_RSRC2:TIDIG_COMP_CNT: 0
	.text
	.p2alignl 7, 3214868480
	.fill 96, 4, 3214868480
	.type	__hip_cuid_635c88e3b17ac05c,@object ; @__hip_cuid_635c88e3b17ac05c
	.section	.bss,"aw",@nobits
	.globl	__hip_cuid_635c88e3b17ac05c
__hip_cuid_635c88e3b17ac05c:
	.byte	0                               ; 0x0
	.size	__hip_cuid_635c88e3b17ac05c, 1

	.ident	"AMD clang version 19.0.0git (https://github.com/RadeonOpenCompute/llvm-project roc-6.4.0 25133 c7fe45cf4b819c5991fe208aaa96edf142730f1d)"
	.section	".note.GNU-stack","",@progbits
	.addrsig
	.addrsig_sym __hip_cuid_635c88e3b17ac05c
	.amdgpu_metadata
---
amdhsa.kernels:
  - .args:
      - .actual_access:  read_only
        .address_space:  global
        .offset:         0
        .size:           8
        .value_kind:     global_buffer
      - .actual_access:  read_only
        .address_space:  global
        .offset:         8
        .size:           8
        .value_kind:     global_buffer
      - .actual_access:  read_only
        .address_space:  global
        .offset:         16
        .size:           8
        .value_kind:     global_buffer
      - .actual_access:  read_only
        .address_space:  global
        .offset:         24
        .size:           8
        .value_kind:     global_buffer
      - .actual_access:  read_only
        .address_space:  global
        .offset:         32
        .size:           8
        .value_kind:     global_buffer
      - .offset:         40
        .size:           8
        .value_kind:     by_value
      - .address_space:  global
        .offset:         48
        .size:           8
        .value_kind:     global_buffer
      - .address_space:  global
        .offset:         56
        .size:           8
        .value_kind:     global_buffer
      - .address_space:  global
        .offset:         64
        .size:           8
        .value_kind:     global_buffer
      - .address_space:  global
        .offset:         72
        .size:           8
        .value_kind:     global_buffer
      - .offset:         80
        .size:           4
        .value_kind:     by_value
      - .address_space:  global
        .offset:         88
        .size:           8
        .value_kind:     global_buffer
      - .address_space:  global
        .offset:         96
        .size:           8
        .value_kind:     global_buffer
    .group_segment_fixed_size: 52224
    .kernarg_segment_align: 8
    .kernarg_segment_size: 104
    .language:       OpenCL C
    .language_version:
      - 2
      - 0
    .max_flat_workgroup_size: 204
    .name:           bluestein_single_fwd_len1088_dim1_dp_op_CI_CI
    .private_segment_fixed_size: 700
    .sgpr_count:     60
    .sgpr_spill_count: 0
    .symbol:         bluestein_single_fwd_len1088_dim1_dp_op_CI_CI.kd
    .uniform_work_group_size: 1
    .uses_dynamic_stack: false
    .vgpr_count:     256
    .vgpr_spill_count: 174
    .wavefront_size: 32
    .workgroup_processor_mode: 1
amdhsa.target:   amdgcn-amd-amdhsa--gfx1100
amdhsa.version:
  - 1
  - 2
...

	.end_amdgpu_metadata
